;; amdgpu-corpus repo=ROCm/rocFFT kind=compiled arch=gfx950 opt=O3
	.text
	.amdgcn_target "amdgcn-amd-amdhsa--gfx950"
	.amdhsa_code_object_version 6
	.protected	bluestein_single_back_len1056_dim1_sp_op_CI_CI ; -- Begin function bluestein_single_back_len1056_dim1_sp_op_CI_CI
	.globl	bluestein_single_back_len1056_dim1_sp_op_CI_CI
	.p2align	8
	.type	bluestein_single_back_len1056_dim1_sp_op_CI_CI,@function
bluestein_single_back_len1056_dim1_sp_op_CI_CI: ; @bluestein_single_back_len1056_dim1_sp_op_CI_CI
; %bb.0:
	s_load_dwordx4 s[12:15], s[0:1], 0x28
	v_mul_u32_u24_e32 v1, 0x175, v0
	v_add_u32_sdwa v50, s2, v1 dst_sel:DWORD dst_unused:UNUSED_PAD src0_sel:DWORD src1_sel:WORD_1
	v_mov_b32_e32 v51, 0
	s_waitcnt lgkmcnt(0)
	v_cmp_gt_u64_e32 vcc, s[12:13], v[50:51]
	s_and_saveexec_b64 s[2:3], vcc
	s_cbranch_execz .LBB0_10
; %bb.1:
	s_load_dwordx4 s[4:7], s[0:1], 0x18
	s_load_dwordx4 s[8:11], s[0:1], 0x0
	v_mov_b32_e32 v2, s14
	v_mov_b32_e32 v3, s15
	s_movk_i32 s2, 0xb0
	s_waitcnt lgkmcnt(0)
	s_load_dwordx4 s[12:15], s[4:5], 0x0
	v_mul_lo_u16_sdwa v1, v1, s2 dst_sel:DWORD dst_unused:UNUSED_PAD src0_sel:WORD_1 src1_sel:DWORD
	v_sub_u16_e32 v180, v0, v1
	v_mov_b32_e32 v14, 0x1080
	v_lshlrev_b32_e32 v62, 3, v180
	s_waitcnt lgkmcnt(0)
	v_mad_u64_u32 v[0:1], s[2:3], s14, v50, 0
	v_mov_b32_e32 v4, v1
	v_mad_u64_u32 v[4:5], s[2:3], s15, v50, v[4:5]
	v_mov_b32_e32 v1, v4
	v_mad_u64_u32 v[4:5], s[2:3], s12, v180, 0
	v_mov_b32_e32 v6, v5
	v_mad_u64_u32 v[6:7], s[2:3], s13, v180, v[6:7]
	v_mov_b32_e32 v5, v6
	v_lshl_add_u64 v[0:1], v[0:1], 3, v[2:3]
	v_lshl_add_u64 v[0:1], v[4:5], 3, v[0:1]
	global_load_dwordx2 v[2:3], v[0:1], off
	v_mov_b32_e32 v63, v51
	v_mad_u64_u32 v[0:1], s[2:3], s12, v14, v[0:1]
	s_mul_i32 s4, s13, 0x1080
	v_lshl_add_u64 v[4:5], s[8:9], 0, v[62:63]
	v_add_u32_e32 v1, s4, v1
	s_movk_i32 s2, 0x1000
	v_mov_b32_e32 v12, 0xfffff500
	v_add_co_u32_e32 v4, vcc, s2, v4
	v_mad_u64_u32 v[6:7], s[2:3], s12, v12, v[0:1]
	s_mul_i32 s2, s13, 0xfffff500
	s_sub_i32 s5, s2, s12
	v_addc_co_u32_e32 v5, vcc, 0, v5, vcc
	v_add_u32_e32 v7, s5, v7
	global_load_dwordx2 v[60:61], v62, s[8:9]
	global_load_dwordx2 v[58:59], v[4:5], off offset:128
	v_add_u32_e32 v21, 0x1400, v62
	global_load_dwordx2 v[0:1], v[0:1], off
	s_nop 0
	global_load_dwordx2 v[8:9], v[6:7], off
	global_load_dwordx2 v[56:57], v62, s[8:9] offset:1408
	v_mad_u64_u32 v[6:7], s[2:3], s12, v14, v[6:7]
	v_add_u32_e32 v7, s4, v7
	global_load_dwordx2 v[54:55], v[4:5], off offset:1536
	global_load_dwordx2 v[10:11], v[6:7], off
	v_mad_u64_u32 v[6:7], s[2:3], s12, v12, v[6:7]
	v_add_u32_e32 v7, s5, v7
	global_load_dwordx2 v[12:13], v[6:7], off
	global_load_dwordx2 v[52:53], v62, s[8:9] offset:2816
	v_mad_u64_u32 v[6:7], s[2:3], s12, v14, v[6:7]
	v_add_u32_e32 v7, s4, v7
	global_load_dwordx2 v[48:49], v[4:5], off offset:2944
	global_load_dwordx2 v[14:15], v[6:7], off
	v_add_u32_e32 v22, 0xa00, v62
	s_load_dwordx4 s[4:7], s[6:7], 0x0
	v_lshlrev_b32_e32 v20, 1, v180
	v_lshlrev_b32_e32 v51, 4, v180
	;; [unrolled: 1-line block ×3, first 2 shown]
	s_movk_i32 s2, 0x1fc
	s_movk_i32 s3, 0x3fc
	;; [unrolled: 1-line block ×3, first 2 shown]
	v_add_u32_e32 v63, 0x160, v20
	v_add_u32_e32 v191, 0x2c0, v20
	v_and_b32_e32 v23, 3, v180
	v_lshlrev_b32_e32 v24, 3, v23
	s_movk_i32 s13, 0x60
	v_cmp_gt_u16_e32 vcc, s13, v180
                                        ; implicit-def: $vgpr46
                                        ; implicit-def: $vgpr66
                                        ; implicit-def: $vgpr68
                                        ; implicit-def: $vgpr70
                                        ; implicit-def: $vgpr44
                                        ; implicit-def: $vgpr72
                                        ; implicit-def: $vgpr32
                                        ; implicit-def: $vgpr36
	s_waitcnt vmcnt(10)
	v_mul_f32_e32 v4, v3, v61
	v_mul_f32_e32 v5, v2, v61
	v_fmac_f32_e32 v4, v2, v60
	v_fma_f32 v5, v3, v60, -v5
	s_waitcnt vmcnt(8)
	v_mul_f32_e32 v2, v1, v59
	v_mul_f32_e32 v3, v0, v59
	v_fmac_f32_e32 v2, v0, v58
	v_fma_f32 v3, v1, v58, -v3
	ds_write_b64 v62, v[2:3] offset:4224
	s_waitcnt vmcnt(6)
	v_mul_f32_e32 v0, v9, v57
	v_mul_f32_e32 v1, v8, v57
	v_fmac_f32_e32 v0, v8, v56
	s_waitcnt vmcnt(2)
	v_mul_f32_e32 v2, v13, v53
	v_mul_f32_e32 v3, v12, v53
	v_fma_f32 v1, v9, v56, -v1
	v_fmac_f32_e32 v2, v12, v52
	v_fma_f32 v3, v13, v52, -v3
	ds_write2_b64 v62, v[4:5], v[0:1] offset1:176
	v_mul_f32_e32 v0, v11, v55
	v_mul_f32_e32 v1, v10, v55
	ds_write_b64 v62, v[2:3] offset:2816
	s_waitcnt vmcnt(0)
	v_mul_f32_e32 v2, v15, v49
	v_mul_f32_e32 v3, v14, v49
	v_fmac_f32_e32 v0, v10, v54
	v_fma_f32 v1, v11, v54, -v1
	v_fmac_f32_e32 v2, v14, v48
	v_fma_f32 v3, v15, v48, -v3
	ds_write2_b64 v21, v[0:1], v[2:3] offset0:64 offset1:240
	s_waitcnt lgkmcnt(0)
	s_barrier
	ds_read2_b64 v[0:3], v62 offset1:176
	ds_read2_b64 v[4:7], v22 offset0:32 offset1:208
	ds_read2_b64 v[8:11], v21 offset0:64 offset1:240
	s_waitcnt lgkmcnt(0)
	s_barrier
	v_pk_add_f32 v[12:13], v[0:1], v[6:7] neg_lo:[0,1] neg_hi:[0,1]
	v_pk_add_f32 v[16:17], v[4:5], v[10:11] neg_lo:[0,1] neg_hi:[0,1]
	v_pk_fma_f32 v[10:11], v[0:1], 2.0, v[12:13] op_sel_hi:[1,0,1] neg_lo:[0,0,1] neg_hi:[0,0,1]
	v_and_b32_e32 v0, 1, v180
	v_pk_add_f32 v[8:9], v[2:3], v[8:9] neg_lo:[0,1] neg_hi:[0,1]
	v_lshlrev_b32_e32 v1, 3, v0
	v_pk_fma_f32 v[6:7], v[2:3], 2.0, v[8:9] op_sel_hi:[1,0,1] neg_lo:[0,0,1] neg_hi:[0,0,1]
	v_pk_fma_f32 v[14:15], v[4:5], 2.0, v[16:17] op_sel_hi:[1,0,1] neg_lo:[0,0,1] neg_hi:[0,0,1]
	ds_write_b128 v51, v[10:13]
	ds_write_b128 v18, v[6:9] offset:2816
	ds_write_b128 v18, v[14:17] offset:5632
	s_waitcnt lgkmcnt(0)
	s_barrier
	global_load_dwordx2 v[40:41], v1, s[10:11]
	v_and_or_b32 v1, v20, s2, v0
	v_lshlrev_b32_e32 v181, 3, v1
	v_and_or_b32 v1, v63, s3, v0
	v_and_or_b32 v0, v191, s12, v0
	v_lshlrev_b32_e32 v182, 3, v1
	v_lshlrev_b32_e32 v183, 3, v0
	ds_read2_b64 v[0:3], v22 offset0:32 offset1:208
	ds_read2_b64 v[4:7], v21 offset0:64 offset1:240
	ds_read2_b64 v[8:11], v62 offset1:176
	s_waitcnt lgkmcnt(0)
	s_barrier
	s_movk_i32 s2, 0x1f8
	s_movk_i32 s3, 0x3f8
	;; [unrolled: 1-line block ×3, first 2 shown]
	s_waitcnt vmcnt(0)
	v_pk_mul_f32 v[12:13], v[6:7], v[40:41] op_sel:[0,1]
	v_pk_mul_f32 v[14:15], v[4:5], v[40:41] op_sel:[0,1]
	;; [unrolled: 1-line block ×3, first 2 shown]
	v_pk_fma_f32 v[18:19], v[6:7], v[40:41], v[12:13] op_sel:[0,0,1] op_sel_hi:[1,1,0] neg_lo:[0,0,1] neg_hi:[0,0,1]
	v_pk_fma_f32 v[6:7], v[6:7], v[40:41], v[12:13] op_sel:[0,0,1] op_sel_hi:[1,0,0]
	v_pk_fma_f32 v[12:13], v[4:5], v[40:41], v[14:15] op_sel:[0,0,1] op_sel_hi:[1,1,0] neg_lo:[0,0,1] neg_hi:[0,0,1]
	v_pk_fma_f32 v[4:5], v[4:5], v[40:41], v[14:15] op_sel:[0,0,1] op_sel_hi:[1,0,0]
	;; [unrolled: 2-line block ×3, first 2 shown]
	v_mov_b32_e32 v19, v7
	v_mov_b32_e32 v15, v3
	;; [unrolled: 1-line block ×3, first 2 shown]
	v_pk_add_f32 v[6:7], v[8:9], v[14:15] neg_lo:[0,1] neg_hi:[0,1]
	v_pk_add_f32 v[2:3], v[0:1], v[18:19] neg_lo:[0,1] neg_hi:[0,1]
	;; [unrolled: 1-line block ×3, first 2 shown]
	v_pk_fma_f32 v[8:9], v[8:9], 2.0, v[6:7] op_sel_hi:[1,0,1] neg_lo:[0,0,1] neg_hi:[0,0,1]
	v_pk_fma_f32 v[0:1], v[0:1], 2.0, v[2:3] op_sel_hi:[1,0,1] neg_lo:[0,0,1] neg_hi:[0,0,1]
	;; [unrolled: 1-line block ×3, first 2 shown]
	ds_write2_b64 v181, v[8:9], v[6:7] offset1:2
	ds_write2_b64 v182, v[10:11], v[4:5] offset1:2
	;; [unrolled: 1-line block ×3, first 2 shown]
	s_waitcnt lgkmcnt(0)
	s_barrier
	global_load_dwordx2 v[42:43], v24, s[10:11] offset:16
	v_and_or_b32 v0, v20, s2, v23
	v_lshlrev_b32_e32 v184, 3, v0
	v_and_or_b32 v0, v63, s3, v23
	v_and_or_b32 v1, v191, s12, v23
	v_lshlrev_b32_e32 v185, 3, v0
	v_lshlrev_b32_e32 v186, 3, v1
	ds_read2_b64 v[0:3], v22 offset0:32 offset1:208
	ds_read2_b64 v[4:7], v21 offset0:64 offset1:240
	ds_read2_b64 v[8:11], v62 offset1:176
	v_and_b32_e32 v24, 7, v180
	v_lshlrev_b32_e32 v25, 3, v24
	s_waitcnt lgkmcnt(0)
	s_barrier
	s_load_dwordx2 s[2:3], s[0:1], 0x38
	s_movk_i32 s0, 0x1f0
	s_movk_i32 s1, 0x3f0
	;; [unrolled: 1-line block ×3, first 2 shown]
	s_waitcnt vmcnt(0)
	v_pk_mul_f32 v[12:13], v[6:7], v[42:43] op_sel:[0,1]
	v_pk_mul_f32 v[14:15], v[4:5], v[42:43] op_sel:[0,1]
	;; [unrolled: 1-line block ×3, first 2 shown]
	v_pk_fma_f32 v[18:19], v[6:7], v[42:43], v[12:13] op_sel:[0,0,1] op_sel_hi:[1,1,0] neg_lo:[0,0,1] neg_hi:[0,0,1]
	v_pk_fma_f32 v[6:7], v[6:7], v[42:43], v[12:13] op_sel:[0,0,1] op_sel_hi:[1,0,0]
	v_pk_fma_f32 v[12:13], v[4:5], v[42:43], v[14:15] op_sel:[0,0,1] op_sel_hi:[1,1,0] neg_lo:[0,0,1] neg_hi:[0,0,1]
	v_pk_fma_f32 v[4:5], v[4:5], v[42:43], v[14:15] op_sel:[0,0,1] op_sel_hi:[1,0,0]
	;; [unrolled: 2-line block ×3, first 2 shown]
	v_mov_b32_e32 v19, v7
	v_mov_b32_e32 v15, v3
	;; [unrolled: 1-line block ×3, first 2 shown]
	v_pk_add_f32 v[6:7], v[8:9], v[14:15] neg_lo:[0,1] neg_hi:[0,1]
	v_pk_add_f32 v[2:3], v[0:1], v[18:19] neg_lo:[0,1] neg_hi:[0,1]
	;; [unrolled: 1-line block ×3, first 2 shown]
	v_pk_fma_f32 v[8:9], v[8:9], 2.0, v[6:7] op_sel_hi:[1,0,1] neg_lo:[0,0,1] neg_hi:[0,0,1]
	v_pk_fma_f32 v[0:1], v[0:1], 2.0, v[2:3] op_sel_hi:[1,0,1] neg_lo:[0,0,1] neg_hi:[0,0,1]
	;; [unrolled: 1-line block ×3, first 2 shown]
	ds_write2_b64 v184, v[8:9], v[6:7] offset1:4
	ds_write2_b64 v185, v[10:11], v[4:5] offset1:4
	;; [unrolled: 1-line block ×3, first 2 shown]
	s_waitcnt lgkmcnt(0)
	s_barrier
	global_load_dwordx2 v[64:65], v25, s[10:11] offset:48
	v_and_or_b32 v0, v20, s0, v24
	v_lshlrev_b32_e32 v187, 3, v0
	v_and_or_b32 v0, v63, s1, v24
	v_and_or_b32 v1, v191, s12, v24
	v_lshlrev_b32_e32 v188, 3, v0
	v_lshlrev_b32_e32 v189, 3, v1
	ds_read2_b64 v[0:3], v62 offset1:176
	ds_read2_b64 v[4:7], v22 offset0:32 offset1:208
	ds_read2_b64 v[8:11], v21 offset0:64 offset1:240
	s_waitcnt lgkmcnt(0)
	s_barrier
	s_waitcnt vmcnt(0)
	v_pk_mul_f32 v[12:13], v[6:7], v[64:65] op_sel:[0,1]
	v_pk_mul_f32 v[14:15], v[8:9], v[64:65] op_sel:[0,1]
	;; [unrolled: 1-line block ×3, first 2 shown]
	v_pk_fma_f32 v[18:19], v[6:7], v[64:65], v[12:13] op_sel:[0,0,1] op_sel_hi:[1,1,0] neg_lo:[0,0,1] neg_hi:[0,0,1]
	v_pk_fma_f32 v[6:7], v[6:7], v[64:65], v[12:13] op_sel:[0,0,1] op_sel_hi:[1,0,0]
	v_pk_fma_f32 v[12:13], v[8:9], v[64:65], v[14:15] op_sel:[0,0,1] op_sel_hi:[1,1,0] neg_lo:[0,0,1] neg_hi:[0,0,1]
	v_pk_fma_f32 v[8:9], v[8:9], v[64:65], v[14:15] op_sel:[0,0,1] op_sel_hi:[1,0,0]
	;; [unrolled: 2-line block ×3, first 2 shown]
	v_mov_b32_e32 v19, v7
	v_mov_b32_e32 v13, v9
	;; [unrolled: 1-line block ×3, first 2 shown]
	v_pk_add_f32 v[22:23], v[0:1], v[18:19] neg_lo:[0,1] neg_hi:[0,1]
	v_pk_add_f32 v[26:27], v[2:3], v[12:13] neg_lo:[0,1] neg_hi:[0,1]
	;; [unrolled: 1-line block ×3, first 2 shown]
	v_pk_fma_f32 v[20:21], v[0:1], 2.0, v[22:23] op_sel_hi:[1,0,1] neg_lo:[0,0,1] neg_hi:[0,0,1]
	v_pk_fma_f32 v[24:25], v[2:3], 2.0, v[26:27] op_sel_hi:[1,0,1] neg_lo:[0,0,1] neg_hi:[0,0,1]
	;; [unrolled: 1-line block ×3, first 2 shown]
	ds_write2_b64 v187, v[20:21], v[22:23] offset1:8
	ds_write2_b64 v188, v[24:25], v[26:27] offset1:8
	;; [unrolled: 1-line block ×3, first 2 shown]
	s_waitcnt lgkmcnt(0)
	s_barrier
	s_and_saveexec_b64 s[0:1], vcc
	s_cbranch_execz .LBB0_3
; %bb.2:
	v_add_u32_e32 v1, 0x1000, v62
	v_add_u32_e32 v0, 0x400, v62
	ds_read2_b64 v[32:35], v1 offset0:64 offset1:160
	v_add_u32_e32 v1, 0x1800, v62
	ds_read2_b64 v[20:23], v62 offset1:96
	ds_read2_b64 v[24:27], v0 offset0:64 offset1:160
	v_add_u32_e32 v0, 0x800, v62
	ds_read2_b64 v[36:39], v1 offset1:96
	ds_read2_b64 v[28:31], v0 offset0:128 offset1:224
	ds_read_b64 v[44:45], v62 offset:7680
	s_waitcnt lgkmcnt(5)
	v_mov_b32_e32 v46, v33
	v_mov_b32_e32 v66, v35
	s_waitcnt lgkmcnt(2)
	v_mov_b32_e32 v68, v37
	v_mov_b32_e32 v70, v39
	s_waitcnt lgkmcnt(0)
	v_mov_b32_e32 v72, v45
.LBB0_3:
	s_or_b64 exec, exec, s[0:1]
	v_and_b32_e32 v190, 15, v180
	s_movk_i32 s0, 0x50
	v_mov_b64_e32 v[0:1], s[10:11]
	v_mad_u64_u32 v[74:75], s[0:1], v190, s0, v[0:1]
	global_load_dwordx4 v[0:3], v[74:75], off offset:112
	global_load_dwordx4 v[4:7], v[74:75], off offset:128
	;; [unrolled: 1-line block ×5, first 2 shown]
	s_mov_b32 s16, 0xbf68dda4
	s_mov_b32 s12, 0xbf4178ce
	;; [unrolled: 1-line block ×13, first 2 shown]
	s_barrier
	s_waitcnt vmcnt(4)
	v_pk_mul_f32 v[74:75], v[24:25], v[2:3] op_sel:[1,0]
	s_waitcnt vmcnt(3)
	v_pk_mul_f32 v[76:77], v[26:27], v[4:5] op_sel:[1,0]
	v_pk_mul_f32 v[78:79], v[28:29], v[6:7] op_sel:[1,0]
	s_waitcnt vmcnt(2)
	v_pk_mul_f32 v[80:81], v[30:31], v[8:9] op_sel:[1,0]
	s_waitcnt vmcnt(0)
	v_pk_mul_f32 v[72:73], v[72:73], v[18:19] op_sel_hi:[0,1]
	v_pk_mul_f32 v[90:91], v[22:23], v[0:1] op_sel:[1,0]
	v_pk_mul_f32 v[82:83], v[46:47], v[10:11] op_sel_hi:[0,1]
	v_pk_mul_f32 v[84:85], v[66:67], v[12:13] op_sel_hi:[0,1]
	;; [unrolled: 1-line block ×3, first 2 shown]
	v_pk_fma_f32 v[46:47], v[24:25], v[2:3], v[74:75] op_sel:[0,0,1] op_sel_hi:[1,1,0] neg_lo:[0,0,1] neg_hi:[0,0,1]
	v_pk_fma_f32 v[92:93], v[24:25], v[2:3], v[74:75] op_sel:[0,0,1] op_sel_hi:[0,1,0]
	v_pk_fma_f32 v[24:25], v[26:27], v[4:5], v[76:77] op_sel:[0,0,1] op_sel_hi:[1,1,0] neg_lo:[0,0,1] neg_hi:[0,0,1]
	v_pk_fma_f32 v[94:95], v[26:27], v[4:5], v[76:77] op_sel:[0,0,1] op_sel_hi:[0,1,0]
	;; [unrolled: 2-line block ×6, first 2 shown]
	v_pk_mul_f32 v[86:87], v[68:69], v[14:15] op_sel_hi:[0,1]
	v_pk_fma_f32 v[76:77], v[38:39], v[16:17], v[88:89] op_sel:[0,0,1] op_sel_hi:[1,1,0] neg_lo:[0,0,1] neg_hi:[0,0,1]
	v_pk_fma_f32 v[38:39], v[38:39], v[16:17], v[88:89] op_sel:[0,0,1] op_sel_hi:[0,1,0]
	v_mov_b32_e32 v81, v23
	v_mov_b32_e32 v79, v45
	v_pk_fma_f32 v[74:75], v[36:37], v[14:15], v[86:87] op_sel:[0,0,1] op_sel_hi:[1,1,0] neg_lo:[0,0,1] neg_hi:[0,0,1]
	v_pk_fma_f32 v[36:37], v[36:37], v[14:15], v[86:87] op_sel:[0,0,1] op_sel_hi:[0,1,0]
	v_mov_b32_e32 v47, v93
	v_mov_b32_e32 v77, v39
	v_pk_add_f32 v[38:39], v[80:81], v[78:79] neg_lo:[0,1] neg_hi:[0,1]
	v_pk_fma_f32 v[70:71], v[34:35], v[12:13], v[84:85] op_sel:[0,0,1] op_sel_hi:[1,1,0] neg_lo:[0,0,1] neg_hi:[0,0,1]
	v_pk_fma_f32 v[34:35], v[34:35], v[12:13], v[84:85] op_sel:[0,0,1] op_sel_hi:[0,1,0]
	v_mov_b32_e32 v25, v95
	v_mov_b32_e32 v75, v37
	v_pk_add_f32 v[36:37], v[80:81], v[78:79]
	v_pk_add_f32 v[72:73], v[46:47], v[76:77] neg_lo:[0,1] neg_hi:[0,1]
	v_pk_mul_f32 v[22:23], v[38:39], s[16:17] op_sel:[1,0] op_sel_hi:[0,0]
	v_mov_b32_e32 v27, v29
	v_mov_b32_e32 v71, v35
	v_pk_add_f32 v[44:45], v[46:47], v[76:77]
	v_pk_add_f32 v[168:169], v[24:25], v[74:75] neg_lo:[0,1] neg_hi:[0,1]
	v_pk_mul_f32 v[28:29], v[72:73], s[12:13] op_sel:[1,0] op_sel_hi:[0,0]
	v_pk_fma_f32 v[94:95], v[36:37], s[14:15], v[22:23] op_sel_hi:[1,0,1]
	v_pk_fma_f32 v[96:97], v[36:37], s[14:15], v[22:23] op_sel_hi:[1,0,1] neg_lo:[0,0,1] neg_hi:[0,0,1]
	v_pk_fma_f32 v[68:69], v[32:33], v[10:11], v[82:83] op_sel:[0,0,1] op_sel_hi:[1,1,0] neg_lo:[0,0,1] neg_hi:[0,0,1]
	v_pk_fma_f32 v[32:33], v[32:33], v[10:11], v[82:83] op_sel:[0,0,1] op_sel_hi:[0,1,0]
	v_mov_b32_e32 v67, v31
	v_pk_add_f32 v[170:171], v[24:25], v[74:75]
	v_pk_add_f32 v[172:173], v[26:27], v[70:71] neg_lo:[0,1] neg_hi:[0,1]
	v_pk_mul_f32 v[30:31], v[168:169], s[26:27] op_sel:[1,0] op_sel_hi:[0,0]
	v_pk_fma_f32 v[90:91], v[44:45], s[0:1], v[28:29] op_sel_hi:[1,0,1]
	v_pk_fma_f32 v[92:93], v[44:45], s[0:1], v[28:29] op_sel_hi:[1,0,1] neg_lo:[0,0,1] neg_hi:[0,0,1]
	v_mov_b32_e32 v28, v94
	v_mov_b32_e32 v29, v97
	;; [unrolled: 1-line block ×3, first 2 shown]
	v_pk_add_f32 v[174:175], v[26:27], v[70:71]
	v_pk_mul_f32 v[32:33], v[172:173], s[24:25] op_sel:[1,0] op_sel_hi:[0,0]
	v_pk_fma_f32 v[86:87], v[170:171], s[18:19], v[30:31] op_sel_hi:[1,0,1]
	v_pk_fma_f32 v[88:89], v[170:171], s[18:19], v[30:31] op_sel_hi:[1,0,1] neg_lo:[0,0,1] neg_hi:[0,0,1]
	v_mov_b32_e32 v30, v90
	v_mov_b32_e32 v31, v93
	v_pk_add_f32 v[28:29], v[20:21], v[28:29]
	v_pk_fma_f32 v[82:83], v[174:175], s[20:21], v[32:33] op_sel_hi:[1,0,1]
	v_pk_fma_f32 v[84:85], v[174:175], s[20:21], v[32:33] op_sel_hi:[1,0,1] neg_lo:[0,0,1] neg_hi:[0,0,1]
	v_mov_b32_e32 v32, v86
	v_mov_b32_e32 v33, v89
	v_pk_add_f32 v[28:29], v[30:31], v[28:29]
	v_pk_mul_f32 v[34:35], v[38:39], s[22:23] op_sel:[1,0] op_sel_hi:[0,0]
	v_mov_b32_e32 v98, v82
	v_mov_b32_e32 v99, v85
	v_pk_add_f32 v[28:29], v[32:33], v[28:29]
	v_pk_fma_f32 v[22:23], v[36:37], s[20:21], v[34:35] op_sel_hi:[1,0,1]
	v_pk_add_f32 v[28:29], v[98:99], v[28:29]
	v_pk_fma_f32 v[98:99], v[36:37], s[20:21], v[34:35] op_sel_hi:[1,0,1] neg_lo:[0,0,1] neg_hi:[0,0,1]
	v_pk_mul_f32 v[32:33], v[72:73], s[26:27] op_sel:[1,0] op_sel_hi:[0,0]
	v_mov_b32_e32 v30, v22
	v_mov_b32_e32 v31, v99
	v_pk_fma_f32 v[100:101], v[44:45], s[18:19], v[32:33] op_sel_hi:[1,0,1]
	v_pk_fma_f32 v[102:103], v[44:45], s[18:19], v[32:33] op_sel_hi:[1,0,1] neg_lo:[0,0,1] neg_hi:[0,0,1]
	v_pk_add_f32 v[30:31], v[20:21], v[30:31]
	v_mov_b32_e32 v32, v100
	v_mov_b32_e32 v33, v103
	s_mov_b32 s26, 0x3f68dda4
	v_pk_add_f32 v[30:31], v[32:33], v[30:31]
	v_pk_mul_f32 v[32:33], v[168:169], s[26:27] op_sel:[1,0] op_sel_hi:[0,0]
	v_pk_fma_f32 v[104:105], v[170:171], s[14:15], v[32:33] op_sel_hi:[1,0,1]
	v_pk_fma_f32 v[106:107], v[170:171], s[14:15], v[32:33] op_sel_hi:[1,0,1] neg_lo:[0,0,1] neg_hi:[0,0,1]
	v_mov_b32_e32 v32, v104
	v_mov_b32_e32 v33, v107
	v_pk_add_f32 v[30:31], v[32:33], v[30:31]
	v_pk_mul_f32 v[32:33], v[172:173], s[30:31] op_sel:[1,0] op_sel_hi:[0,0]
	v_pk_fma_f32 v[110:111], v[174:175], s[28:29], v[32:33] op_sel_hi:[1,0,1]
	v_pk_fma_f32 v[114:115], v[174:175], s[28:29], v[32:33] op_sel_hi:[1,0,1] neg_lo:[0,0,1] neg_hi:[0,0,1]
	v_mov_b32_e32 v32, v110
	v_mov_b32_e32 v33, v115
	v_pk_add_f32 v[176:177], v[66:67], v[68:69] neg_lo:[0,1] neg_hi:[0,1]
	v_pk_add_f32 v[32:33], v[32:33], v[30:31]
	v_pk_add_f32 v[178:179], v[66:67], v[68:69]
	v_pk_mul_f32 v[30:31], v[176:177], s[34:35] op_sel:[1,0] op_sel_hi:[0,0]
	v_pk_fma_f32 v[132:133], v[178:179], s[28:29], v[30:31] op_sel_hi:[1,0,1]
	v_pk_fma_f32 v[134:135], v[178:179], s[28:29], v[30:31] op_sel_hi:[1,0,1] neg_lo:[0,0,1] neg_hi:[0,0,1]
	v_mov_b32_e32 v30, v132
	v_mov_b32_e32 v31, v135
	v_pk_add_f32 v[30:31], v[30:31], v[28:29]
	v_pk_mul_f32 v[28:29], v[176:177], s[12:13] op_sel:[1,0] op_sel_hi:[0,0]
	v_pk_fma_f32 v[128:129], v[178:179], s[0:1], v[28:29] op_sel_hi:[1,0,1]
	v_pk_fma_f32 v[130:131], v[178:179], s[0:1], v[28:29] op_sel_hi:[1,0,1] neg_lo:[0,0,1] neg_hi:[0,0,1]
	v_mov_b32_e32 v28, v128
	v_mov_b32_e32 v29, v131
	v_pk_add_f32 v[28:29], v[28:29], v[32:33]
	v_pk_mul_f32 v[32:33], v[38:39], s[36:37] op_sel:[1,0] op_sel_hi:[0,0]
	v_pk_fma_f32 v[108:109], v[36:37], s[18:19], v[32:33] op_sel_hi:[1,0,1]
	v_pk_fma_f32 v[112:113], v[36:37], s[18:19], v[32:33] op_sel_hi:[1,0,1] neg_lo:[0,0,1] neg_hi:[0,0,1]
	v_pk_mul_f32 v[34:35], v[72:73], s[34:35] op_sel:[1,0] op_sel_hi:[0,0]
	v_mov_b32_e32 v32, v108
	v_mov_b32_e32 v33, v113
	v_pk_fma_f32 v[116:117], v[44:45], s[28:29], v[34:35] op_sel_hi:[1,0,1]
	v_pk_fma_f32 v[118:119], v[44:45], s[28:29], v[34:35] op_sel_hi:[1,0,1] neg_lo:[0,0,1] neg_hi:[0,0,1]
	v_pk_add_f32 v[32:33], v[20:21], v[32:33]
	v_mov_b32_e32 v34, v116
	v_mov_b32_e32 v35, v119
	v_pk_add_f32 v[32:33], v[34:35], v[32:33]
	v_pk_mul_f32 v[34:35], v[168:169], s[12:13] op_sel:[1,0] op_sel_hi:[0,0]
	v_pk_fma_f32 v[120:121], v[170:171], s[0:1], v[34:35] op_sel_hi:[1,0,1]
	v_pk_fma_f32 v[122:123], v[170:171], s[0:1], v[34:35] op_sel_hi:[1,0,1] neg_lo:[0,0,1] neg_hi:[0,0,1]
	v_mov_b32_e32 v34, v120
	v_mov_b32_e32 v35, v123
	v_pk_add_f32 v[32:33], v[34:35], v[32:33]
	v_pk_mul_f32 v[34:35], v[172:173], s[26:27] op_sel:[1,0] op_sel_hi:[0,0]
	v_pk_fma_f32 v[124:125], v[174:175], s[14:15], v[34:35] op_sel_hi:[1,0,1]
	v_pk_fma_f32 v[126:127], v[174:175], s[14:15], v[34:35] op_sel_hi:[1,0,1] neg_lo:[0,0,1] neg_hi:[0,0,1]
	;; [unrolled: 6-line block ×3, first 2 shown]
	v_pk_mul_f32 v[142:143], v[72:73], s[24:25] op_sel:[1,0] op_sel_hi:[0,0]
	v_mov_b32_e32 v34, v136
	v_mov_b32_e32 v35, v139
	v_pk_fma_f32 v[140:141], v[44:45], s[20:21], v[142:143] op_sel_hi:[1,0,1]
	v_pk_fma_f32 v[146:147], v[44:45], s[20:21], v[142:143] op_sel_hi:[1,0,1] neg_lo:[0,0,1] neg_hi:[0,0,1]
	v_pk_add_f32 v[34:35], v[20:21], v[34:35]
	v_mov_b32_e32 v142, v140
	v_mov_b32_e32 v143, v147
	v_pk_add_f32 v[34:35], v[142:143], v[34:35]
	v_pk_mul_f32 v[142:143], v[168:169], s[30:31] op_sel:[1,0] op_sel_hi:[0,0]
	v_pk_fma_f32 v[148:149], v[170:171], s[28:29], v[142:143] op_sel_hi:[1,0,1]
	v_pk_fma_f32 v[150:151], v[170:171], s[28:29], v[142:143] op_sel_hi:[1,0,1] neg_lo:[0,0,1] neg_hi:[0,0,1]
	v_mov_b32_e32 v142, v148
	v_mov_b32_e32 v143, v151
	v_pk_add_f32 v[34:35], v[142:143], v[34:35]
	v_pk_mul_f32 v[142:143], v[172:173], s[36:37] op_sel:[1,0] op_sel_hi:[0,0]
	v_pk_fma_f32 v[152:153], v[174:175], s[18:19], v[142:143] op_sel_hi:[1,0,1]
	v_pk_fma_f32 v[154:155], v[174:175], s[18:19], v[142:143] op_sel_hi:[1,0,1] neg_lo:[0,0,1] neg_hi:[0,0,1]
	;; [unrolled: 6-line block ×3, first 2 shown]
	v_mov_b32_e32 v142, v156
	v_mov_b32_e32 v143, v159
	v_pk_mul_f32 v[144:145], v[176:177], s[22:23] op_sel:[1,0] op_sel_hi:[0,0]
	v_pk_add_f32 v[34:35], v[142:143], v[34:35]
	v_pk_fma_f32 v[142:143], v[178:179], s[20:21], v[144:145] op_sel_hi:[1,0,1]
	v_pk_fma_f32 v[144:145], v[178:179], s[20:21], v[144:145] op_sel_hi:[1,0,1] neg_lo:[0,0,1] neg_hi:[0,0,1]
	v_mov_b32_e32 v160, v142
	v_mov_b32_e32 v161, v145
	v_pk_mul_f32 v[38:39], v[38:39], s[30:31] op_sel:[1,0] op_sel_hi:[0,0]
	v_pk_add_f32 v[32:33], v[160:161], v[32:33]
	v_pk_fma_f32 v[160:161], v[36:37], s[28:29], v[38:39] op_sel_hi:[1,0,1]
	v_pk_fma_f32 v[166:167], v[36:37], s[28:29], v[38:39] op_sel_hi:[1,0,1] neg_lo:[0,0,1] neg_hi:[0,0,1]
	v_pk_mul_f32 v[36:37], v[72:73], s[16:17] op_sel:[1,0] op_sel_hi:[0,0]
	v_pk_fma_f32 v[162:163], v[44:45], s[14:15], v[36:37] op_sel_hi:[1,0,1]
	v_pk_fma_f32 v[164:165], v[44:45], s[14:15], v[36:37] op_sel_hi:[1,0,1] neg_lo:[0,0,1] neg_hi:[0,0,1]
	v_mov_b32_e32 v36, v160
	v_mov_b32_e32 v37, v167
	v_pk_add_f32 v[36:37], v[20:21], v[36:37]
	v_mov_b32_e32 v38, v162
	v_mov_b32_e32 v39, v165
	v_pk_add_f32 v[36:37], v[38:39], v[36:37]
	v_pk_mul_f32 v[38:39], v[168:169], s[22:23] op_sel:[1,0] op_sel_hi:[0,0]
	v_pk_fma_f32 v[168:169], v[170:171], s[20:21], v[38:39] op_sel_hi:[1,0,1]
	v_pk_fma_f32 v[170:171], v[170:171], s[20:21], v[38:39] op_sel_hi:[1,0,1] neg_lo:[0,0,1] neg_hi:[0,0,1]
	v_mov_b32_e32 v38, v168
	v_mov_b32_e32 v39, v171
	v_pk_add_f32 v[36:37], v[38:39], v[36:37]
	v_pk_mul_f32 v[38:39], v[172:173], s[12:13] op_sel:[1,0] op_sel_hi:[0,0]
	v_pk_fma_f32 v[172:173], v[174:175], s[0:1], v[38:39] op_sel_hi:[1,0,1]
	v_pk_fma_f32 v[174:175], v[174:175], s[0:1], v[38:39] op_sel_hi:[1,0,1] neg_lo:[0,0,1] neg_hi:[0,0,1]
	v_mov_b32_e32 v38, v172
	v_mov_b32_e32 v39, v175
	v_pk_add_f32 v[36:37], v[38:39], v[36:37]
	v_pk_mul_f32 v[38:39], v[176:177], s[36:37] op_sel:[1,0] op_sel_hi:[0,0]
	v_pk_fma_f32 v[176:177], v[178:179], s[18:19], v[38:39] op_sel_hi:[1,0,1]
	v_pk_fma_f32 v[178:179], v[178:179], s[18:19], v[38:39] op_sel_hi:[1,0,1] neg_lo:[0,0,1] neg_hi:[0,0,1]
	v_mov_b32_e32 v38, v176
	v_mov_b32_e32 v39, v179
	v_pk_add_f32 v[72:73], v[38:39], v[36:37]
	v_lshlrev_b32_e32 v90, 3, v63
	v_lshlrev_b32_e32 v86, 3, v191
	v_mov_b32_e32 v44, v40
	v_mov_b32_e32 v45, v40
	;; [unrolled: 1-line block ×9, first 2 shown]
	v_lshrrev_b32_e32 v82, 4, v180
	v_mov_b32_e32 v63, 0
	s_and_saveexec_b64 s[0:1], vcc
	s_cbranch_execz .LBB0_5
; %bb.4:
	v_pk_add_f32 v[80:81], v[20:21], v[80:81]
	v_mov_b32_e32 v167, v161
	v_pk_add_f32 v[46:47], v[80:81], v[46:47]
	v_mov_b32_e32 v165, v163
	;; [unrolled: 2-line block ×3, first 2 shown]
	v_pk_add_f32 v[24:25], v[24:25], v[26:27]
	v_pk_add_f32 v[26:27], v[20:21], v[166:167]
	v_pk_add_f32 v[24:25], v[24:25], v[66:67]
	v_pk_add_f32 v[26:27], v[164:165], v[26:27]
	v_pk_add_f32 v[24:25], v[24:25], v[68:69]
	v_mul_u32_u24_e32 v22, 0xb0, v82
	v_pk_add_f32 v[24:25], v[24:25], v[70:71]
	v_pk_add_f32 v[26:27], v[170:171], v[26:27]
	;; [unrolled: 1-line block ×3, first 2 shown]
	v_mov_b32_e32 v175, v173
	v_or_b32_e32 v22, v22, v190
	v_pk_add_f32 v[24:25], v[24:25], v[76:77]
	v_pk_add_f32 v[26:27], v[174:175], v[26:27]
	v_mov_b32_e32 v179, v177
	v_lshlrev_b32_e32 v94, 3, v22
	v_pk_add_f32 v[24:25], v[24:25], v[78:79]
	v_pk_add_f32 v[26:27], v[178:179], v[26:27]
	v_mov_b32_e32 v97, v95
	v_mov_b32_e32 v99, v23
	ds_write2_b64 v94, v[24:25], v[26:27] offset1:16
	v_pk_add_f32 v[24:25], v[20:21], v[96:97]
	v_mov_b32_e32 v93, v91
	v_pk_add_f32 v[22:23], v[20:21], v[98:99]
	v_mov_b32_e32 v103, v101
	;; [unrolled: 2-line block ×8, first 2 shown]
	v_pk_add_f32 v[24:25], v[134:135], v[24:25]
	v_pk_add_f32 v[22:23], v[130:131], v[22:23]
	v_mov_b32_e32 v139, v137
	v_mov_b32_e32 v113, v109
	ds_write2_b64 v94, v[24:25], v[22:23] offset0:32 offset1:48
	v_pk_add_f32 v[22:23], v[20:21], v[138:139]
	v_mov_b32_e32 v147, v141
	v_pk_add_f32 v[20:21], v[20:21], v[112:113]
	v_mov_b32_e32 v119, v117
	;; [unrolled: 2-line block ×8, first 2 shown]
	v_pk_add_f32 v[22:23], v[158:159], v[22:23]
	v_pk_add_f32 v[20:21], v[144:145], v[20:21]
	ds_write2_b64 v94, v[22:23], v[20:21] offset0:64 offset1:80
	ds_write2_b64 v94, v[32:33], v[34:35] offset0:96 offset1:112
	;; [unrolled: 1-line block ×3, first 2 shown]
	ds_write_b64 v94, v[72:73] offset:1280
.LBB0_5:
	s_or_b64 exec, exec, s[0:1]
	v_mad_u64_u32 v[46:47], s[0:1], v180, 40, s[10:11]
	s_waitcnt lgkmcnt(0)
	s_barrier
	global_load_dwordx4 v[20:23], v[46:47], off offset:1408
	global_load_dwordx4 v[24:27], v[46:47], off offset:1392
	global_load_dwordx2 v[66:67], v[46:47], off offset:1424
	v_lshl_add_u64 v[46:47], s[8:9], 0, v[62:63]
	v_add_u32_e32 v63, 0xa00, v62
	ds_read2_b64 v[74:77], v62 offset1:176
	v_add_u32_e32 v69, 0x1400, v62
	ds_read2_b64 v[78:81], v63 offset0:32 offset1:208
	ds_read2_b64 v[92:95], v69 offset0:64 offset1:240
	s_mov_b32 s8, 0x3f5db3d7
	s_mov_b32 s9, 0xbf5db3d7
	s_movk_i32 s0, 0x2000
	v_add_co_u32_e64 v84, s[0:1], s0, v46
	s_mov_b64 s[10:11], 0x2100
	s_nop 0
	v_addc_co_u32_e64 v85, s[0:1], 0, v47, s[0:1]
	s_movk_i32 s0, 0x3000
	s_waitcnt vmcnt(2)
	v_mov_b32_e32 v68, v23
	s_waitcnt vmcnt(1)
	v_mov_b32_e32 v70, v27
	s_waitcnt lgkmcnt(2)
	v_pk_mul_f32 v[88:89], v[76:77], v[24:25] op_sel:[0,1]
	s_waitcnt lgkmcnt(1)
	v_pk_mul_f32 v[96:97], v[80:81], v[20:21] op_sel:[0,1]
	s_waitcnt vmcnt(0) lgkmcnt(0)
	v_pk_mul_f32 v[98:99], v[94:95], v[66:67] op_sel:[0,1]
	v_pk_fma_f32 v[100:101], v[76:77], v[24:25], v[88:89] op_sel:[0,0,1] op_sel_hi:[1,1,0] neg_lo:[0,0,1] neg_hi:[0,0,1]
	v_pk_fma_f32 v[76:77], v[76:77], v[24:25], v[88:89] op_sel:[0,0,1] op_sel_hi:[1,0,0]
	v_pk_mul_f32 v[88:89], v[78:79], v[70:71] op_sel_hi:[1,0]
	v_pk_fma_f32 v[102:103], v[80:81], v[20:21], v[96:97] op_sel:[0,0,1] op_sel_hi:[1,1,0] neg_lo:[0,0,1] neg_hi:[0,0,1]
	v_pk_fma_f32 v[80:81], v[80:81], v[20:21], v[96:97] op_sel:[0,0,1] op_sel_hi:[1,0,0]
	v_pk_mul_f32 v[96:97], v[92:93], v[68:69] op_sel_hi:[1,0]
	v_pk_fma_f32 v[104:105], v[94:95], v[66:67], v[98:99] op_sel:[0,0,1] op_sel_hi:[1,1,0] neg_lo:[0,0,1] neg_hi:[0,0,1]
	v_pk_fma_f32 v[94:95], v[94:95], v[66:67], v[98:99] op_sel:[0,0,1] op_sel_hi:[1,0,0]
	v_mov_b32_e32 v101, v77
	v_pk_fma_f32 v[76:77], v[78:79], v[26:27], v[88:89] op_sel:[0,0,1] op_sel_hi:[1,1,0] neg_lo:[0,0,1] neg_hi:[0,0,1]
	v_pk_fma_f32 v[78:79], v[78:79], v[26:27], v[88:89] op_sel:[0,0,1] op_sel_hi:[1,0,0]
	v_mov_b32_e32 v103, v81
	;; [unrolled: 3-line block ×3, first 2 shown]
	v_mov_b32_e32 v77, v79
	v_mov_b32_e32 v81, v89
	v_pk_add_f32 v[88:89], v[102:103], v[104:105]
	v_pk_add_f32 v[92:93], v[102:103], v[104:105] neg_lo:[0,1] neg_hi:[0,1]
	v_pk_add_f32 v[94:95], v[74:75], v[76:77]
	v_pk_add_f32 v[96:97], v[76:77], v[80:81]
	v_pk_add_f32 v[76:77], v[76:77], v[80:81] neg_lo:[0,1] neg_hi:[0,1]
	v_pk_fma_f32 v[88:89], v[88:89], 0.5, v[100:101] op_sel_hi:[1,0,1] neg_lo:[1,0,0] neg_hi:[1,0,0]
	v_pk_add_f32 v[80:81], v[94:95], v[80:81]
	v_pk_fma_f32 v[74:75], v[96:97], 0.5, v[74:75] op_sel_hi:[1,0,1] neg_lo:[1,0,0] neg_hi:[1,0,0]
	v_pk_mul_f32 v[76:77], v[76:77], s[8:9] op_sel_hi:[1,0]
	v_pk_fma_f32 v[94:95], v[92:93], s[8:9], v[88:89] op_sel:[0,0,1] op_sel_hi:[1,0,0]
	v_pk_fma_f32 v[88:89], v[92:93], s[8:9], v[88:89] op_sel:[0,0,1] op_sel_hi:[1,0,0] neg_lo:[1,0,0] neg_hi:[1,0,0]
	v_pk_add_f32 v[78:79], v[100:101], v[102:103]
	v_pk_add_f32 v[96:97], v[76:77], v[74:75] op_sel:[1,0] op_sel_hi:[0,1]
	v_pk_add_f32 v[74:75], v[74:75], v[76:77] op_sel:[0,1] op_sel_hi:[1,0] neg_lo:[0,1] neg_hi:[0,1]
	v_mov_b32_e32 v76, v94
	v_mov_b32_e32 v77, v89
	v_mul_f32_e32 v27, 0xbf5db3d7, v95
	v_pk_add_f32 v[78:79], v[78:79], v[104:105]
	v_mul_f32_e32 v23, 0x3f5db3d7, v88
	v_fmac_f32_e32 v27, 0.5, v88
	v_pk_mul_f32 v[88:89], v[76:77], 0.5 op_sel_hi:[1,0]
	v_pk_add_f32 v[92:93], v[80:81], v[78:79]
	v_pk_add_f32 v[78:79], v[80:81], v[78:79] neg_lo:[0,1] neg_hi:[0,1]
	v_mov_b32_e32 v80, v74
	v_mov_b32_e32 v81, v97
	v_fmac_f32_e32 v23, 0.5, v95
	v_pk_fma_f32 v[76:77], v[76:77], s[8:9], v[88:89] op_sel:[0,0,1] op_sel_hi:[1,1,0] neg_lo:[0,0,1] neg_hi:[0,0,1]
	v_add_f32_e32 v94, v96, v23
	v_add_f32_e32 v95, v75, v27
	v_pk_add_f32 v[88:89], v[80:81], v[76:77]
	v_sub_f32_e32 v74, v96, v23
	v_sub_f32_e32 v75, v75, v27
	ds_write2_b64 v62, v[92:93], v[94:95] offset1:176
	v_pk_add_f32 v[76:77], v[80:81], v[76:77] neg_lo:[0,1] neg_hi:[0,1]
	ds_write2_b64 v63, v[88:89], v[78:79] offset0:32 offset1:208
	ds_write2_b64 v69, v[74:75], v[76:77] offset0:64 offset1:240
	s_waitcnt lgkmcnt(0)
	s_barrier
	global_load_dwordx2 v[78:79], v[84:85], off offset:256
	v_lshl_add_u64 v[74:75], v[46:47], 0, s[10:11]
	global_load_dwordx2 v[84:85], v[74:75], off offset:1408
	v_add_co_u32_e64 v46, s[0:1], s0, v46
	v_add_u32_e32 v23, 0x1000, v62
	s_nop 0
	v_addc_co_u32_e64 v47, s[0:1], 0, v47, s[0:1]
	global_load_dwordx2 v[88:89], v[46:47], off offset:384
	global_load_dwordx2 v[96:97], v[46:47], off offset:1792
	;; [unrolled: 1-line block ×4, first 2 shown]
	ds_read2_b64 v[74:77], v62 offset1:176
	v_add_u32_e32 v27, 0x400, v62
	s_waitcnt vmcnt(5) lgkmcnt(0)
	v_mul_f32_e32 v46, v75, v79
	v_mul_f32_e32 v47, v74, v79
	v_fma_f32 v46, v74, v78, -v46
	v_fmac_f32_e32 v47, v75, v78
	ds_write_b64 v62, v[46:47]
	ds_read2_b64 v[78:81], v63 offset0:32 offset1:208
	ds_read2_b64 v[92:95], v69 offset0:64 offset1:240
	s_waitcnt vmcnt(4)
	v_mul_f32_e32 v71, v77, v85
	v_mul_f32_e32 v47, v76, v85
	v_fma_f32 v46, v76, v84, -v71
	v_fmac_f32_e32 v47, v77, v84
	s_waitcnt vmcnt(3) lgkmcnt(1)
	v_mul_f32_e32 v71, v81, v89
	v_mul_f32_e32 v75, v80, v89
	s_waitcnt vmcnt(2) lgkmcnt(0)
	v_mul_f32_e32 v76, v93, v97
	v_mul_f32_e32 v77, v92, v97
	s_waitcnt vmcnt(1)
	v_mul_f32_e32 v83, v79, v99
	v_mul_f32_e32 v85, v78, v99
	s_waitcnt vmcnt(0)
	v_mul_f32_e32 v87, v95, v101
	v_mul_f32_e32 v89, v94, v101
	v_fma_f32 v74, v80, v88, -v71
	v_fmac_f32_e32 v75, v81, v88
	v_fma_f32 v76, v92, v96, -v76
	v_fmac_f32_e32 v77, v93, v96
	;; [unrolled: 2-line block ×4, first 2 shown]
	ds_write2_b64 v23, v[74:75], v[76:77] offset0:16 offset1:192
	ds_write2_b64 v27, v[46:47], v[84:85] offset0:48 offset1:224
	ds_write_b64 v62, v[88:89] offset:7040
	s_waitcnt lgkmcnt(0)
	s_barrier
	ds_read2_b64 v[74:77], v62 offset1:176
	ds_read2_b64 v[78:81], v63 offset0:32 offset1:208
	ds_read2_b64 v[92:95], v69 offset0:64 offset1:240
	s_waitcnt lgkmcnt(0)
	s_barrier
	v_pk_add_f32 v[96:97], v[74:75], v[80:81] neg_lo:[0,1] neg_hi:[0,1]
	v_pk_add_f32 v[80:81], v[78:79], v[94:95] neg_lo:[0,1] neg_hi:[0,1]
	;; [unrolled: 1-line block ×3, first 2 shown]
	v_pk_fma_f32 v[94:95], v[74:75], 2.0, v[96:97] op_sel_hi:[1,0,1] neg_lo:[0,0,1] neg_hi:[0,0,1]
	v_pk_fma_f32 v[78:79], v[78:79], 2.0, v[80:81] op_sel_hi:[1,0,1] neg_lo:[0,0,1] neg_hi:[0,0,1]
	;; [unrolled: 1-line block ×3, first 2 shown]
	ds_write_b128 v51, v[94:97]
	ds_write_b128 v90, v[98:101]
	;; [unrolled: 1-line block ×3, first 2 shown]
	s_waitcnt lgkmcnt(0)
	s_barrier
	ds_read2_b64 v[74:77], v63 offset0:32 offset1:208
	ds_read2_b64 v[78:81], v69 offset0:64 offset1:240
	ds_read2_b64 v[84:87], v62 offset1:176
	s_waitcnt lgkmcnt(0)
	s_barrier
	v_pk_mul_f32 v[46:47], v[40:41], v[80:81]
	v_pk_mul_f32 v[88:89], v[40:41], v[78:79]
	;; [unrolled: 1-line block ×3, first 2 shown]
	v_pk_fma_f32 v[90:91], v[44:45], v[80:81], v[46:47] op_sel:[0,0,1] op_sel_hi:[1,1,0]
	v_pk_fma_f32 v[46:47], v[44:45], v[80:81], v[46:47] op_sel:[0,0,1] op_sel_hi:[1,1,0] neg_lo:[0,0,1] neg_hi:[0,0,1]
	v_pk_fma_f32 v[80:81], v[44:45], v[78:79], v[88:89] op_sel:[0,0,1] op_sel_hi:[1,1,0]
	v_pk_fma_f32 v[78:79], v[44:45], v[78:79], v[88:89] op_sel:[0,0,1] op_sel_hi:[1,1,0] neg_lo:[0,0,1] neg_hi:[0,0,1]
	;; [unrolled: 2-line block ×3, first 2 shown]
	v_mov_b32_e32 v91, v47
	v_mov_b32_e32 v81, v79
	;; [unrolled: 1-line block ×3, first 2 shown]
	v_pk_add_f32 v[40:41], v[74:75], v[90:91] neg_lo:[0,1] neg_hi:[0,1]
	v_pk_add_f32 v[44:45], v[86:87], v[80:81] neg_lo:[0,1] neg_hi:[0,1]
	;; [unrolled: 1-line block ×3, first 2 shown]
	v_pk_fma_f32 v[74:75], v[74:75], 2.0, v[40:41] op_sel_hi:[1,0,1] neg_lo:[0,0,1] neg_hi:[0,0,1]
	v_pk_fma_f32 v[76:77], v[86:87], 2.0, v[44:45] op_sel_hi:[1,0,1] neg_lo:[0,0,1] neg_hi:[0,0,1]
	;; [unrolled: 1-line block ×3, first 2 shown]
	ds_write2_b64 v181, v[78:79], v[46:47] offset1:2
	ds_write2_b64 v182, v[76:77], v[44:45] offset1:2
	;; [unrolled: 1-line block ×3, first 2 shown]
	s_waitcnt lgkmcnt(0)
	s_barrier
	ds_read2_b64 v[44:47], v63 offset0:32 offset1:208
	ds_read2_b64 v[74:77], v69 offset0:64 offset1:240
	ds_read2_b64 v[78:81], v62 offset1:176
	s_waitcnt lgkmcnt(0)
	s_barrier
	v_pk_mul_f32 v[40:41], v[42:43], v[76:77]
	v_pk_mul_f32 v[84:85], v[42:43], v[74:75]
	;; [unrolled: 1-line block ×3, first 2 shown]
	v_pk_fma_f32 v[86:87], v[38:39], v[76:77], v[40:41] op_sel:[0,0,1] op_sel_hi:[1,1,0]
	v_pk_fma_f32 v[40:41], v[38:39], v[76:77], v[40:41] op_sel:[0,0,1] op_sel_hi:[1,1,0] neg_lo:[0,0,1] neg_hi:[0,0,1]
	v_pk_fma_f32 v[76:77], v[38:39], v[74:75], v[84:85] op_sel:[0,0,1] op_sel_hi:[1,1,0]
	v_pk_fma_f32 v[74:75], v[38:39], v[74:75], v[84:85] op_sel:[0,0,1] op_sel_hi:[1,1,0] neg_lo:[0,0,1] neg_hi:[0,0,1]
	;; [unrolled: 2-line block ×3, first 2 shown]
	v_mov_b32_e32 v87, v41
	v_mov_b32_e32 v85, v39
	v_mov_b32_e32 v77, v75
	v_pk_add_f32 v[42:43], v[78:79], v[84:85] neg_lo:[0,1] neg_hi:[0,1]
	v_pk_add_f32 v[38:39], v[44:45], v[86:87] neg_lo:[0,1] neg_hi:[0,1]
	;; [unrolled: 1-line block ×3, first 2 shown]
	v_pk_fma_f32 v[74:75], v[78:79], 2.0, v[42:43] op_sel_hi:[1,0,1] neg_lo:[0,0,1] neg_hi:[0,0,1]
	v_pk_fma_f32 v[44:45], v[44:45], 2.0, v[38:39] op_sel_hi:[1,0,1] neg_lo:[0,0,1] neg_hi:[0,0,1]
	;; [unrolled: 1-line block ×3, first 2 shown]
	ds_write2_b64 v184, v[74:75], v[42:43] offset1:4
	ds_write2_b64 v185, v[46:47], v[40:41] offset1:4
	;; [unrolled: 1-line block ×3, first 2 shown]
	s_waitcnt lgkmcnt(0)
	s_barrier
	ds_read2_b64 v[40:43], v63 offset0:32 offset1:208
	ds_read2_b64 v[84:87], v69 offset0:64 offset1:240
	ds_read2_b64 v[78:81], v62 offset1:176
	v_mov_b32_e32 v74, v21
	v_mov_b32_e32 v76, v25
	s_waitcnt lgkmcnt(2)
	v_pk_mul_f32 v[38:39], v[64:65], v[42:43]
	s_waitcnt lgkmcnt(0)
	v_pk_fma_f32 v[44:45], v[36:37], v[42:43], v[38:39] op_sel:[0,0,1] op_sel_hi:[1,1,0]
	v_pk_fma_f32 v[38:39], v[36:37], v[42:43], v[38:39] op_sel:[0,0,1] op_sel_hi:[1,1,0] neg_lo:[0,0,1] neg_hi:[0,0,1]
	v_pk_mul_f32 v[42:43], v[64:65], v[84:85]
	v_mov_b32_e32 v45, v39
	v_pk_add_f32 v[38:39], v[78:79], v[44:45] neg_lo:[0,1] neg_hi:[0,1]
	v_pk_fma_f32 v[44:45], v[36:37], v[84:85], v[42:43] op_sel:[0,0,1] op_sel_hi:[1,1,0]
	v_pk_fma_f32 v[42:43], v[36:37], v[84:85], v[42:43] op_sel:[0,0,1] op_sel_hi:[1,1,0] neg_lo:[0,0,1] neg_hi:[0,0,1]
	s_barrier
	v_mov_b32_e32 v45, v43
	v_pk_mul_f32 v[42:43], v[64:65], v[86:87]
	v_pk_add_f32 v[46:47], v[80:81], v[44:45] neg_lo:[0,1] neg_hi:[0,1]
	v_pk_fma_f32 v[64:65], v[36:37], v[86:87], v[42:43] op_sel:[0,0,1] op_sel_hi:[1,1,0]
	v_pk_fma_f32 v[36:37], v[36:37], v[86:87], v[42:43] op_sel:[0,0,1] op_sel_hi:[1,1,0] neg_lo:[0,0,1] neg_hi:[0,0,1]
	v_pk_fma_f32 v[44:45], v[80:81], 2.0, v[46:47] op_sel_hi:[1,0,1] neg_lo:[0,0,1] neg_hi:[0,0,1]
	v_mov_b32_e32 v65, v37
	v_pk_add_f32 v[42:43], v[40:41], v[64:65] neg_lo:[0,1] neg_hi:[0,1]
	v_pk_fma_f32 v[36:37], v[78:79], 2.0, v[38:39] op_sel_hi:[1,0,1] neg_lo:[0,0,1] neg_hi:[0,0,1]
	v_pk_fma_f32 v[40:41], v[40:41], 2.0, v[42:43] op_sel_hi:[1,0,1] neg_lo:[0,0,1] neg_hi:[0,0,1]
	ds_write2_b64 v187, v[36:37], v[38:39] offset1:8
	ds_write2_b64 v188, v[44:45], v[46:47] offset1:8
	;; [unrolled: 1-line block ×3, first 2 shown]
	s_waitcnt lgkmcnt(0)
	s_barrier
	s_and_saveexec_b64 s[0:1], vcc
	s_cbranch_execz .LBB0_7
; %bb.6:
	v_add_u32_e32 v21, 0x800, v62
	ds_read2_b64 v[36:39], v62 offset1:96
	ds_read2_b64 v[44:47], v27 offset0:64 offset1:160
	ds_read2_b64 v[40:43], v21 offset0:128 offset1:224
	;; [unrolled: 1-line block ×3, first 2 shown]
	v_add_u32_e32 v21, 0x1800, v62
	ds_read2_b64 v[28:31], v21 offset1:96
	ds_read_b64 v[72:73], v62 offset:7680
.LBB0_7:
	s_or_b64 exec, exec, s[0:1]
	v_mov_b32_e32 v25, v24
	v_mov_b32_e32 v77, v76
	;; [unrolled: 1-line block ×11, first 2 shown]
	s_waitcnt lgkmcnt(0)
	s_barrier
	s_and_saveexec_b64 s[0:1], vcc
	s_cbranch_execz .LBB0_9
; %bb.8:
	v_pk_mul_f32 v[78:79], v[18:19], v[72:73] op_sel:[0,1]
	v_pk_mul_f32 v[86:87], v[2:3], v[44:45] op_sel_hi:[1,0]
	v_mul_u32_u24_e32 v51, 0xb0, v82
	v_pk_fma_f32 v[82:83], v[18:19], v[72:73], v[78:79] op_sel:[0,0,1] op_sel_hi:[1,1,0]
	v_pk_fma_f32 v[18:19], v[18:19], v[72:73], v[78:79] op_sel:[0,0,1] op_sel_hi:[1,0,0] neg_lo:[1,0,0] neg_hi:[1,0,0]
	v_pk_mul_f32 v[84:85], v[16:17], v[30:31] op_sel:[0,1]
	v_mov_b32_e32 v83, v19
	v_pk_fma_f32 v[18:19], v[2:3], v[44:45], v[86:87] op_sel:[1,1,0] op_sel_hi:[0,1,1]
	v_pk_fma_f32 v[2:3], v[2:3], v[44:45], v[86:87] op_sel:[1,1,0] op_sel_hi:[0,1,1] neg_lo:[0,0,1] neg_hi:[0,0,1]
	v_pk_mul_f32 v[90:91], v[4:5], v[46:47] op_sel:[0,1]
	v_mov_b32_e32 v19, v3
	v_pk_fma_f32 v[2:3], v[16:17], v[30:31], v[84:85] op_sel:[0,0,1] op_sel_hi:[1,1,0]
	v_pk_fma_f32 v[16:17], v[16:17], v[30:31], v[84:85] op_sel:[0,0,1] op_sel_hi:[1,0,0] neg_lo:[1,0,0] neg_hi:[1,0,0]
	v_pk_mul_f32 v[88:89], v[14:15], v[28:29] op_sel:[0,1]
	v_mov_b32_e32 v3, v17
	v_pk_fma_f32 v[16:17], v[4:5], v[46:47], v[90:91] op_sel:[0,0,1] op_sel_hi:[1,1,0]
	v_pk_fma_f32 v[4:5], v[4:5], v[46:47], v[90:91] op_sel:[0,0,1] op_sel_hi:[1,0,0] neg_lo:[1,0,0] neg_hi:[1,0,0]
	v_pk_mul_f32 v[94:95], v[6:7], v[40:41] op_sel:[0,1]
	v_mov_b32_e32 v17, v5
	v_pk_fma_f32 v[4:5], v[14:15], v[28:29], v[88:89] op_sel:[0,0,1] op_sel_hi:[1,1,0]
	v_pk_fma_f32 v[14:15], v[14:15], v[28:29], v[88:89] op_sel:[0,0,1] op_sel_hi:[1,0,0] neg_lo:[1,0,0] neg_hi:[1,0,0]
	v_pk_mul_f32 v[92:93], v[12:13], v[34:35] op_sel:[0,1]
	v_mov_b32_e32 v5, v15
	v_pk_fma_f32 v[14:15], v[6:7], v[40:41], v[94:95] op_sel:[0,0,1] op_sel_hi:[1,1,0]
	v_pk_fma_f32 v[6:7], v[6:7], v[40:41], v[94:95] op_sel:[0,0,1] op_sel_hi:[1,0,0] neg_lo:[1,0,0] neg_hi:[1,0,0]
	v_pk_mul_f32 v[98:99], v[8:9], v[42:43] op_sel:[0,1]
	v_mov_b32_e32 v15, v7
	v_pk_fma_f32 v[6:7], v[12:13], v[34:35], v[92:93] op_sel:[0,0,1] op_sel_hi:[1,1,0]
	v_pk_fma_f32 v[12:13], v[12:13], v[34:35], v[92:93] op_sel:[0,0,1] op_sel_hi:[1,0,0] neg_lo:[1,0,0] neg_hi:[1,0,0]
	v_pk_mul_f32 v[96:97], v[10:11], v[32:33] op_sel:[0,1]
	v_mov_b32_e32 v7, v13
	v_pk_fma_f32 v[12:13], v[8:9], v[42:43], v[98:99] op_sel:[0,0,1] op_sel_hi:[1,1,0]
	v_pk_fma_f32 v[8:9], v[8:9], v[42:43], v[98:99] op_sel:[0,0,1] op_sel_hi:[1,0,0] neg_lo:[1,0,0] neg_hi:[1,0,0]
	v_pk_mul_f32 v[80:81], v[0:1], v[38:39] op_sel:[0,1]
	v_mov_b32_e32 v13, v9
	v_pk_fma_f32 v[8:9], v[10:11], v[32:33], v[96:97] op_sel:[0,0,1] op_sel_hi:[1,1,0]
	v_pk_fma_f32 v[10:11], v[10:11], v[32:33], v[96:97] op_sel:[0,0,1] op_sel_hi:[1,0,0] neg_lo:[1,0,0] neg_hi:[1,0,0]
	s_mov_b32 s18, 0xbf0a6770
	v_mov_b32_e32 v9, v11
	v_pk_fma_f32 v[10:11], v[0:1], v[38:39], v[80:81] op_sel:[0,0,1] op_sel_hi:[1,1,0]
	v_pk_fma_f32 v[0:1], v[0:1], v[38:39], v[80:81] op_sel:[0,0,1] op_sel_hi:[1,0,0] neg_lo:[1,0,0] neg_hi:[1,0,0]
	v_pk_add_f32 v[32:33], v[18:19], v[2:3] neg_lo:[0,1] neg_hi:[0,1]
	v_mov_b32_e32 v11, v1
	v_pk_add_f32 v[28:29], v[10:11], v[82:83] neg_lo:[0,1] neg_hi:[0,1]
	v_pk_add_f32 v[0:1], v[82:83], v[10:11]
	s_mov_b32 s10, 0x3f575c64
	v_pk_mul_f32 v[72:73], v[28:29], s[18:19] op_sel_hi:[1,0]
	s_mov_b32 s26, 0xbf68dda4
	v_pk_add_f32 v[30:31], v[2:3], v[18:19]
	v_pk_fma_f32 v[78:79], v[0:1], s[10:11], v[72:73] op_sel:[0,0,1] op_sel_hi:[1,0,0]
	v_pk_fma_f32 v[72:73], v[0:1], s[10:11], v[72:73] op_sel:[0,0,1] op_sel_hi:[1,0,0] neg_lo:[0,0,1] neg_hi:[0,0,1]
	s_mov_b32 s8, 0x3ed4b147
	v_pk_mul_f32 v[84:85], v[32:33], s[26:27] op_sel_hi:[1,0]
	v_mov_b32_e32 v80, v78
	v_mov_b32_e32 v81, v73
	v_pk_fma_f32 v[86:87], v[30:31], s[8:9], v[84:85] op_sel:[0,0,1] op_sel_hi:[1,0,0]
	v_pk_fma_f32 v[84:85], v[30:31], s[8:9], v[84:85] op_sel:[0,0,1] op_sel_hi:[1,0,0] neg_lo:[0,0,1] neg_hi:[0,0,1]
	v_pk_add_f32 v[38:39], v[16:17], v[4:5] neg_lo:[0,1] neg_hi:[0,1]
	v_pk_add_f32 v[80:81], v[36:37], v[80:81]
	v_mov_b32_e32 v88, v86
	v_mov_b32_e32 v89, v85
	s_mov_b32 s14, 0xbf7d64f0
	v_pk_add_f32 v[34:35], v[4:5], v[16:17]
	v_pk_add_f32 v[80:81], v[88:89], v[80:81]
	s_mov_b32 s12, 0xbe11bafb
	v_pk_mul_f32 v[88:89], v[38:39], s[14:15] op_sel_hi:[1,0]
	v_pk_add_f32 v[10:11], v[36:37], v[10:11]
	v_pk_fma_f32 v[90:91], v[34:35], s[12:13], v[88:89] op_sel:[0,0,1] op_sel_hi:[1,0,0]
	v_pk_fma_f32 v[88:89], v[34:35], s[12:13], v[88:89] op_sel:[0,0,1] op_sel_hi:[1,0,0] neg_lo:[0,0,1] neg_hi:[0,0,1]
	v_pk_add_f32 v[10:11], v[18:19], v[10:11]
	v_pk_add_f32 v[42:43], v[14:15], v[6:7] neg_lo:[0,1] neg_hi:[0,1]
	v_mov_b32_e32 v92, v90
	v_mov_b32_e32 v93, v89
	s_mov_b32 s20, 0xbf4178ce
	v_pk_add_f32 v[10:11], v[16:17], v[10:11]
	v_pk_add_f32 v[40:41], v[6:7], v[14:15]
	;; [unrolled: 1-line block ×3, first 2 shown]
	s_mov_b32 s16, 0xbf27a4f4
	v_pk_mul_f32 v[92:93], v[42:43], s[20:21] op_sel_hi:[1,0]
	v_pk_add_f32 v[10:11], v[14:15], v[10:11]
	v_pk_fma_f32 v[94:95], v[40:41], s[16:17], v[92:93] op_sel:[0,0,1] op_sel_hi:[1,0,0]
	v_pk_fma_f32 v[92:93], v[40:41], s[16:17], v[92:93] op_sel:[0,0,1] op_sel_hi:[1,0,0] neg_lo:[0,0,1] neg_hi:[0,0,1]
	v_pk_add_f32 v[10:11], v[12:13], v[10:11]
	v_pk_add_f32 v[44:45], v[8:9], v[12:13]
	v_pk_add_f32 v[46:47], v[12:13], v[8:9] neg_lo:[0,1] neg_hi:[0,1]
	v_mov_b32_e32 v96, v94
	v_mov_b32_e32 v97, v93
	s_mov_b32 s24, 0xbe903f40
	v_pk_add_f32 v[8:9], v[8:9], v[10:11]
	v_pk_add_f32 v[80:81], v[96:97], v[80:81]
	s_mov_b32 s22, 0xbf75a155
	v_pk_mul_f32 v[96:97], v[46:47], s[24:25] op_sel_hi:[1,0]
	v_pk_add_f32 v[6:7], v[6:7], v[8:9]
	v_pk_fma_f32 v[98:99], v[44:45], s[22:23], v[96:97] op_sel:[0,0,1] op_sel_hi:[1,0,0]
	v_pk_fma_f32 v[96:97], v[44:45], s[22:23], v[96:97] op_sel:[0,0,1] op_sel_hi:[1,0,0] neg_lo:[0,0,1] neg_hi:[0,0,1]
	v_pk_add_f32 v[4:5], v[4:5], v[6:7]
	v_or_b32_e32 v51, v51, v190
	v_mov_b32_e32 v100, v98
	v_mov_b32_e32 v101, v97
	v_pk_add_f32 v[2:3], v[2:3], v[4:5]
	v_lshlrev_b32_e32 v51, 3, v51
	v_pk_add_f32 v[80:81], v[100:101], v[80:81]
	v_pk_add_f32 v[2:3], v[82:83], v[2:3]
	ds_write2_b64 v51, v[2:3], v[80:81] offset1:16
	v_pk_mul_f32 v[2:3], v[28:29], s[26:27] op_sel_hi:[1,0]
	v_pk_mul_f32 v[8:9], v[32:33], s[20:21] op_sel_hi:[1,0]
	v_pk_fma_f32 v[4:5], v[0:1], s[8:9], v[2:3] op_sel:[0,0,1] op_sel_hi:[1,0,0]
	v_pk_fma_f32 v[2:3], v[0:1], s[8:9], v[2:3] op_sel:[0,0,1] op_sel_hi:[1,0,0] neg_lo:[0,0,1] neg_hi:[0,0,1]
	v_mov_b32_e32 v6, v4
	v_mov_b32_e32 v7, v3
	v_pk_fma_f32 v[10:11], v[30:31], s[16:17], v[8:9] op_sel:[0,0,1] op_sel_hi:[1,0,0]
	v_pk_fma_f32 v[8:9], v[30:31], s[16:17], v[8:9] op_sel:[0,0,1] op_sel_hi:[1,0,0] neg_lo:[0,0,1] neg_hi:[0,0,1]
	v_pk_add_f32 v[6:7], v[36:37], v[6:7]
	v_mov_b32_e32 v12, v10
	v_mov_b32_e32 v13, v9
	s_mov_b32 s26, 0x3e903f40
	v_pk_add_f32 v[6:7], v[12:13], v[6:7]
	v_pk_mul_f32 v[12:13], v[38:39], s[26:27] op_sel_hi:[1,0]
	s_mov_b32 s28, 0x3f7d64f0
	v_pk_fma_f32 v[14:15], v[34:35], s[22:23], v[12:13] op_sel:[0,0,1] op_sel_hi:[1,0,0]
	v_pk_fma_f32 v[12:13], v[34:35], s[22:23], v[12:13] op_sel:[0,0,1] op_sel_hi:[1,0,0] neg_lo:[0,0,1] neg_hi:[0,0,1]
	v_mov_b32_e32 v16, v14
	v_mov_b32_e32 v17, v13
	v_pk_add_f32 v[6:7], v[16:17], v[6:7]
	v_pk_mul_f32 v[16:17], v[42:43], s[28:29] op_sel_hi:[1,0]
	s_mov_b32 s30, 0x3f0a6770
	v_pk_fma_f32 v[18:19], v[40:41], s[12:13], v[16:17] op_sel:[0,0,1] op_sel_hi:[1,0,0]
	v_pk_fma_f32 v[16:17], v[40:41], s[12:13], v[16:17] op_sel:[0,0,1] op_sel_hi:[1,0,0] neg_lo:[0,0,1] neg_hi:[0,0,1]
	v_mov_b32_e32 v80, v18
	v_mov_b32_e32 v81, v17
	v_pk_add_f32 v[6:7], v[80:81], v[6:7]
	v_pk_mul_f32 v[80:81], v[46:47], s[30:31] op_sel_hi:[1,0]
	v_pk_mul_f32 v[106:107], v[32:33], s[26:27] op_sel_hi:[1,0]
	v_pk_fma_f32 v[82:83], v[44:45], s[10:11], v[80:81] op_sel:[0,0,1] op_sel_hi:[1,0,0]
	v_pk_fma_f32 v[80:81], v[44:45], s[10:11], v[80:81] op_sel:[0,0,1] op_sel_hi:[1,0,0] neg_lo:[0,0,1] neg_hi:[0,0,1]
	v_mov_b32_e32 v100, v82
	v_mov_b32_e32 v101, v81
	v_pk_add_f32 v[6:7], v[100:101], v[6:7]
	v_pk_mul_f32 v[100:101], v[28:29], s[14:15] op_sel_hi:[1,0]
	v_pk_fma_f32 v[108:109], v[30:31], s[22:23], v[106:107] op_sel:[0,0,1] op_sel_hi:[1,0,0]
	v_pk_fma_f32 v[102:103], v[0:1], s[12:13], v[100:101] op_sel:[0,0,1] op_sel_hi:[1,0,0]
	v_pk_fma_f32 v[100:101], v[0:1], s[12:13], v[100:101] op_sel:[0,0,1] op_sel_hi:[1,0,0] neg_lo:[0,0,1] neg_hi:[0,0,1]
	v_mov_b32_e32 v104, v102
	v_mov_b32_e32 v105, v101
	v_pk_fma_f32 v[106:107], v[30:31], s[22:23], v[106:107] op_sel:[0,0,1] op_sel_hi:[1,0,0] neg_lo:[0,0,1] neg_hi:[0,0,1]
	v_pk_add_f32 v[104:105], v[36:37], v[104:105]
	v_mov_b32_e32 v110, v108
	v_mov_b32_e32 v111, v107
	s_mov_b32 s26, 0x3f68dda4
	v_pk_add_f32 v[104:105], v[110:111], v[104:105]
	v_pk_mul_f32 v[110:111], v[38:39], s[26:27] op_sel_hi:[1,0]
	v_pk_mul_f32 v[124:125], v[32:33], s[28:29] op_sel_hi:[1,0]
	v_pk_fma_f32 v[112:113], v[34:35], s[8:9], v[110:111] op_sel:[0,0,1] op_sel_hi:[1,0,0]
	v_pk_fma_f32 v[110:111], v[34:35], s[8:9], v[110:111] op_sel:[0,0,1] op_sel_hi:[1,0,0] neg_lo:[0,0,1] neg_hi:[0,0,1]
	v_mov_b32_e32 v114, v112
	v_mov_b32_e32 v115, v111
	v_pk_add_f32 v[104:105], v[114:115], v[104:105]
	v_pk_mul_f32 v[114:115], v[42:43], s[18:19] op_sel_hi:[1,0]
	v_pk_fma_f32 v[126:127], v[30:31], s[12:13], v[124:125] op_sel:[0,0,1] op_sel_hi:[1,0,0]
	v_pk_fma_f32 v[116:117], v[40:41], s[10:11], v[114:115] op_sel:[0,0,1] op_sel_hi:[1,0,0]
	v_pk_fma_f32 v[114:115], v[40:41], s[10:11], v[114:115] op_sel:[0,0,1] op_sel_hi:[1,0,0] neg_lo:[0,0,1] neg_hi:[0,0,1]
	v_mov_b32_e32 v118, v116
	v_mov_b32_e32 v119, v115
	v_pk_add_f32 v[104:105], v[118:119], v[104:105]
	v_pk_mul_f32 v[118:119], v[46:47], s[20:21] op_sel_hi:[1,0]
	v_pk_fma_f32 v[124:125], v[30:31], s[12:13], v[124:125] op_sel:[0,0,1] op_sel_hi:[1,0,0] neg_lo:[0,0,1] neg_hi:[0,0,1]
	v_pk_fma_f32 v[120:121], v[44:45], s[16:17], v[118:119] op_sel:[0,0,1] op_sel_hi:[1,0,0]
	v_pk_fma_f32 v[118:119], v[44:45], s[16:17], v[118:119] op_sel:[0,0,1] op_sel_hi:[1,0,0] neg_lo:[0,0,1] neg_hi:[0,0,1]
	v_mov_b32_e32 v122, v120
	v_mov_b32_e32 v123, v119
	v_pk_add_f32 v[104:105], v[122:123], v[104:105]
	ds_write2_b64 v51, v[6:7], v[104:105] offset0:32 offset1:48
	v_pk_mul_f32 v[6:7], v[28:29], s[20:21] op_sel_hi:[1,0]
	v_mov_b32_e32 v128, v126
	v_pk_fma_f32 v[104:105], v[0:1], s[16:17], v[6:7] op_sel:[0,0,1] op_sel_hi:[1,0,0]
	v_pk_fma_f32 v[6:7], v[0:1], s[16:17], v[6:7] op_sel:[0,0,1] op_sel_hi:[1,0,0] neg_lo:[0,0,1] neg_hi:[0,0,1]
	v_mov_b32_e32 v122, v104
	v_mov_b32_e32 v123, v7
	v_pk_add_f32 v[122:123], v[36:37], v[122:123]
	v_mov_b32_e32 v129, v125
	v_pk_add_f32 v[122:123], v[128:129], v[122:123]
	v_pk_mul_f32 v[128:129], v[38:39], s[18:19] op_sel_hi:[1,0]
	v_pk_mul_f32 v[28:29], v[28:29], s[24:25] op_sel_hi:[1,0]
	v_pk_fma_f32 v[130:131], v[34:35], s[10:11], v[128:129] op_sel:[0,0,1] op_sel_hi:[1,0,0]
	v_pk_fma_f32 v[128:129], v[34:35], s[10:11], v[128:129] op_sel:[0,0,1] op_sel_hi:[1,0,0] neg_lo:[0,0,1] neg_hi:[0,0,1]
	v_mov_b32_e32 v132, v130
	v_mov_b32_e32 v133, v129
	v_pk_add_f32 v[122:123], v[132:133], v[122:123]
	v_pk_mul_f32 v[132:133], v[42:43], s[24:25] op_sel_hi:[1,0]
	v_pk_mul_f32 v[32:33], v[32:33], s[30:31] op_sel_hi:[1,0]
	v_pk_fma_f32 v[134:135], v[40:41], s[22:23], v[132:133] op_sel:[0,0,1] op_sel_hi:[1,0,0]
	v_pk_fma_f32 v[132:133], v[40:41], s[22:23], v[132:133] op_sel:[0,0,1] op_sel_hi:[1,0,0] neg_lo:[0,0,1] neg_hi:[0,0,1]
	v_mov_b32_e32 v136, v134
	v_mov_b32_e32 v137, v133
	v_pk_add_f32 v[122:123], v[136:137], v[122:123]
	v_pk_mul_f32 v[136:137], v[46:47], s[26:27] op_sel_hi:[1,0]
	v_pk_fma_f32 v[142:143], v[30:31], s[10:11], v[32:33] op_sel:[0,0,1] op_sel_hi:[1,0,0]
	v_pk_fma_f32 v[138:139], v[44:45], s[8:9], v[136:137] op_sel:[0,0,1] op_sel_hi:[1,0,0]
	v_pk_fma_f32 v[136:137], v[44:45], s[8:9], v[136:137] op_sel:[0,0,1] op_sel_hi:[1,0,0] neg_lo:[0,0,1] neg_hi:[0,0,1]
	v_mov_b32_e32 v140, v138
	v_mov_b32_e32 v141, v137
	v_pk_add_f32 v[122:123], v[140:141], v[122:123]
	v_pk_fma_f32 v[140:141], v[0:1], s[22:23], v[28:29] op_sel:[0,0,1] op_sel_hi:[1,0,0]
	v_pk_fma_f32 v[0:1], v[0:1], s[22:23], v[28:29] op_sel:[0,0,1] op_sel_hi:[1,0,0] neg_lo:[0,0,1] neg_hi:[0,0,1]
	v_mov_b32_e32 v28, v140
	v_mov_b32_e32 v29, v1
	v_pk_fma_f32 v[30:31], v[30:31], s[10:11], v[32:33] op_sel:[0,0,1] op_sel_hi:[1,0,0] neg_lo:[0,0,1] neg_hi:[0,0,1]
	v_pk_add_f32 v[28:29], v[36:37], v[28:29]
	v_mov_b32_e32 v32, v142
	v_mov_b32_e32 v33, v31
	v_pk_add_f32 v[28:29], v[32:33], v[28:29]
	v_pk_mul_f32 v[32:33], v[38:39], s[20:21] op_sel_hi:[1,0]
	v_mov_b32_e32 v1, v141
	v_pk_fma_f32 v[38:39], v[34:35], s[16:17], v[32:33] op_sel:[0,0,1] op_sel_hi:[1,0,0]
	v_pk_fma_f32 v[32:33], v[34:35], s[16:17], v[32:33] op_sel:[0,0,1] op_sel_hi:[1,0,0] neg_lo:[0,0,1] neg_hi:[0,0,1]
	v_mov_b32_e32 v34, v38
	v_mov_b32_e32 v35, v33
	v_pk_add_f32 v[28:29], v[34:35], v[28:29]
	v_pk_mul_f32 v[34:35], v[42:43], s[26:27] op_sel_hi:[1,0]
	v_mov_b32_e32 v7, v105
	v_pk_fma_f32 v[42:43], v[40:41], s[8:9], v[34:35] op_sel:[0,0,1] op_sel_hi:[1,0,0]
	v_pk_fma_f32 v[34:35], v[40:41], s[8:9], v[34:35] op_sel:[0,0,1] op_sel_hi:[1,0,0] neg_lo:[0,0,1] neg_hi:[0,0,1]
	v_mov_b32_e32 v40, v42
	v_mov_b32_e32 v41, v35
	v_pk_add_f32 v[0:1], v[36:37], v[0:1]
	v_mov_b32_e32 v31, v143
	v_pk_add_f32 v[6:7], v[36:37], v[6:7]
	;; [unrolled: 2-line block ×3, first 2 shown]
	v_pk_mul_f32 v[40:41], v[46:47], s[14:15] op_sel_hi:[1,0]
	v_pk_add_f32 v[0:1], v[30:31], v[0:1]
	v_mov_b32_e32 v33, v39
	v_pk_add_f32 v[6:7], v[124:125], v[6:7]
	v_mov_b32_e32 v129, v131
	v_pk_fma_f32 v[46:47], v[44:45], s[12:13], v[40:41] op_sel:[0,0,1] op_sel_hi:[1,0,0]
	v_pk_fma_f32 v[40:41], v[44:45], s[12:13], v[40:41] op_sel:[0,0,1] op_sel_hi:[1,0,0] neg_lo:[0,0,1] neg_hi:[0,0,1]
	v_pk_add_f32 v[0:1], v[32:33], v[0:1]
	v_mov_b32_e32 v35, v43
	v_pk_add_f32 v[6:7], v[128:129], v[6:7]
	v_mov_b32_e32 v133, v135
	v_mov_b32_e32 v45, v41
	v_pk_add_f32 v[0:1], v[34:35], v[0:1]
	v_mov_b32_e32 v41, v47
	v_pk_add_f32 v[6:7], v[132:133], v[6:7]
	;; [unrolled: 2-line block ×3, first 2 shown]
	v_pk_add_f32 v[6:7], v[136:137], v[6:7]
	v_mov_b32_e32 v101, v103
	v_mov_b32_e32 v3, v5
	ds_write2_b64 v51, v[0:1], v[6:7] offset0:96 offset1:112
	v_pk_add_f32 v[0:1], v[36:37], v[100:101]
	v_mov_b32_e32 v107, v109
	v_pk_add_f32 v[2:3], v[36:37], v[2:3]
	v_mov_b32_e32 v9, v11
	;; [unrolled: 2-line block ×8, first 2 shown]
	v_pk_add_f32 v[0:1], v[118:119], v[0:1]
	v_pk_add_f32 v[2:3], v[80:81], v[2:3]
	v_mov_b32_e32 v73, v79
	ds_write2_b64 v51, v[0:1], v[2:3] offset0:128 offset1:144
	v_pk_add_f32 v[0:1], v[36:37], v[72:73]
	v_mov_b32_e32 v85, v87
	v_pk_add_f32 v[0:1], v[84:85], v[0:1]
	v_mov_b32_e32 v89, v91
	;; [unrolled: 2-line block ×3, first 2 shown]
	v_mov_b32_e32 v44, v46
	v_pk_add_f32 v[0:1], v[92:93], v[0:1]
	v_mov_b32_e32 v97, v99
	v_pk_add_f32 v[28:29], v[44:45], v[28:29]
	v_pk_add_f32 v[0:1], v[96:97], v[0:1]
	ds_write2_b64 v51, v[122:123], v[28:29] offset0:64 offset1:80
	ds_write_b64 v51, v[0:1] offset:1280
.LBB0_9:
	s_or_b64 exec, exec, s[0:1]
	s_waitcnt lgkmcnt(0)
	s_barrier
	ds_read2_b64 v[0:3], v62 offset1:176
	v_add_u32_e32 v28, 0xa00, v62
	ds_read2_b64 v[4:7], v28 offset0:32 offset1:208
	v_add_u32_e32 v29, 0x1400, v62
	ds_read2_b64 v[8:11], v29 offset0:64 offset1:240
	s_waitcnt lgkmcnt(2)
	v_pk_mul_f32 v[16:17], v[76:77], v[2:3]
	v_mov_b32_e32 v12, s2
	v_pk_fma_f32 v[18:19], v[24:25], v[2:3], v[16:17] op_sel:[0,0,1] op_sel_hi:[1,1,0]
	v_pk_fma_f32 v[2:3], v[24:25], v[2:3], v[16:17] op_sel:[0,0,1] op_sel_hi:[1,1,0] neg_lo:[0,0,1] neg_hi:[0,0,1]
	s_waitcnt lgkmcnt(1)
	v_pk_mul_f32 v[16:17], v[70:71], v[4:5]
	v_mov_b32_e32 v19, v3
	v_pk_fma_f32 v[24:25], v[26:27], v[4:5], v[16:17] op_sel:[0,0,1] op_sel_hi:[1,1,0]
	v_pk_fma_f32 v[4:5], v[26:27], v[4:5], v[16:17] op_sel:[0,0,1] op_sel_hi:[1,1,0] neg_lo:[0,0,1] neg_hi:[0,0,1]
	v_mov_b32_e32 v2, v18
	v_mov_b32_e32 v25, v5
	v_pk_mul_f32 v[4:5], v[74:75], v[6:7]
	s_mov_b32 s2, 0x3f5db3d7
	v_pk_fma_f32 v[16:17], v[20:21], v[6:7], v[4:5] op_sel:[0,0,1] op_sel_hi:[1,1,0]
	v_pk_fma_f32 v[4:5], v[20:21], v[6:7], v[4:5] op_sel:[0,0,1] op_sel_hi:[1,1,0] neg_lo:[0,0,1] neg_hi:[0,0,1]
	s_mov_b32 s8, 0.5
	v_mov_b32_e32 v17, v5
	s_waitcnt lgkmcnt(0)
	v_pk_mul_f32 v[4:5], v[68:69], v[8:9]
	v_mov_b32_e32 v13, s3
	v_pk_fma_f32 v[6:7], v[22:23], v[8:9], v[4:5] op_sel:[0,0,1] op_sel_hi:[1,1,0]
	v_pk_fma_f32 v[4:5], v[22:23], v[8:9], v[4:5] op_sel:[0,0,1] op_sel_hi:[1,1,0] neg_lo:[0,0,1] neg_hi:[0,0,1]
	s_mov_b32 s9, s2
	v_mov_b32_e32 v7, v5
	v_pk_mul_f32 v[4:5], v[66:67], v[10:11]
	v_mad_u64_u32 v[14:15], s[0:1], s6, v50, 0
	v_pk_fma_f32 v[8:9], v[64:65], v[10:11], v[4:5] op_sel:[0,0,1] op_sel_hi:[1,1,0]
	v_pk_fma_f32 v[4:5], v[64:65], v[10:11], v[4:5] op_sel:[0,0,1] op_sel_hi:[1,1,0] neg_lo:[0,0,1] neg_hi:[0,0,1]
	s_mov_b32 s0, -0.5
	v_mov_b32_e32 v9, v5
	v_pk_add_f32 v[10:11], v[16:17], v[8:9]
	v_pk_add_f32 v[4:5], v[0:1], v[24:25]
	v_fmac_f32_e32 v2, -0.5, v10
	v_pk_add_f32 v[20:21], v[16:17], v[8:9] neg_lo:[0,1] neg_hi:[0,1]
	v_pk_add_f32 v[16:17], v[18:19], v[16:17]
	v_fmac_f32_e32 v3, -0.5, v11
	v_pk_add_f32 v[4:5], v[4:5], v[6:7]
	v_fmamk_f32 v10, v21, 0xbf5db3d7, v2
	v_fmac_f32_e32 v2, 0x3f5db3d7, v21
	v_pk_add_f32 v[8:9], v[16:17], v[8:9]
	v_fmamk_f32 v16, v20, 0x3f5db3d7, v3
	v_fmac_f32_e32 v3, 0xbf5db3d7, v20
	v_pk_add_f32 v[20:21], v[24:25], v[6:7]
	v_pk_add_f32 v[6:7], v[24:25], v[6:7] neg_lo:[0,1] neg_hi:[0,1]
	v_pk_fma_f32 v[0:1], -0.5, v[20:21], v[0:1] op_sel_hi:[0,1,1]
	v_pk_mul_f32 v[6:7], v[6:7], s[2:3] op_sel_hi:[1,0]
	s_mov_b32 s3, s8
	v_pk_mul_f32 v[16:17], v[16:17], s[2:3] op_sel_hi:[0,1]
	v_pk_add_f32 v[20:21], v[0:1], v[6:7] op_sel:[0,1] op_sel_hi:[1,0] neg_lo:[0,1] neg_hi:[0,1]
	v_pk_add_f32 v[0:1], v[0:1], v[6:7] op_sel:[0,1] op_sel_hi:[1,0]
	v_pk_fma_f32 v[22:23], v[10:11], s[8:9], v[16:17] neg_lo:[0,0,1] neg_hi:[0,0,1]
	v_pk_fma_f32 v[10:11], v[10:11], s[8:9], v[16:17] op_sel_hi:[0,1,1]
	v_mov_b32_e32 v6, v20
	v_mov_b32_e32 v7, v1
	;; [unrolled: 1-line block ×3, first 2 shown]
	v_pk_add_f32 v[18:19], v[4:5], v[8:9]
	v_pk_add_f32 v[10:11], v[6:7], v[22:23]
	ds_write2_b64 v62, v[18:19], v[10:11] offset1:176
	v_mov_b32_e32 v10, v3
	s_mov_b32 s1, s2
	v_pk_mul_f32 v[10:11], v[10:11], s[2:3] op_sel_hi:[0,1]
	v_pk_fma_f32 v[2:3], v[2:3], s[0:1], v[10:11] op_sel_hi:[0,1,1] neg_lo:[0,0,1] neg_hi:[0,0,1]
	v_mov_b32_e32 v1, v21
	v_pk_add_f32 v[10:11], v[0:1], v[2:3]
	v_pk_add_f32 v[4:5], v[4:5], v[8:9] neg_lo:[0,1] neg_hi:[0,1]
	ds_write2_b64 v28, v[10:11], v[4:5] offset0:32 offset1:208
	v_pk_add_f32 v[4:5], v[6:7], v[22:23] neg_lo:[0,1] neg_hi:[0,1]
	v_pk_add_f32 v[0:1], v[0:1], v[2:3] neg_lo:[0,1] neg_hi:[0,1]
	ds_write2_b64 v29, v[4:5], v[0:1] offset0:64 offset1:240
	s_waitcnt lgkmcnt(0)
	s_barrier
	ds_read2_b64 v[0:3], v62 offset1:176
	v_mov_b32_e32 v4, v15
	v_mad_u64_u32 v[4:5], s[0:1], s7, v50, v[4:5]
	v_mov_b32_e32 v15, v4
	s_waitcnt lgkmcnt(0)
	v_mul_f32_e32 v4, v61, v1
	v_fmac_f32_e32 v4, v60, v0
	v_mul_f32_e32 v0, v61, v0
	s_mov_b32 s0, 0xf07c1f08
	v_fma_f32 v0, v60, v1, -v0
	s_mov_b32 s1, 0x3f4f07c1
	v_cvt_f64_f32_e32 v[0:1], v0
	v_cvt_f64_f32_e32 v[4:5], v4
	v_mul_f64 v[0:1], v[0:1], s[0:1]
	v_mul_f64 v[4:5], v[4:5], s[0:1]
	v_cvt_f32_f64_e32 v9, v[0:1]
	v_mad_u64_u32 v[0:1], s[2:3], s4, v180, 0
	v_cvt_f32_f64_e32 v8, v[4:5]
	v_mov_b32_e32 v4, v1
	v_mad_u64_u32 v[10:11], s[2:3], s5, v180, v[4:5]
	ds_read2_b64 v[4:7], v28 offset0:32 offset1:208
	v_mov_b32_e32 v1, v10
	v_lshl_add_u64 v[10:11], v[14:15], 3, v[12:13]
	v_lshl_add_u64 v[0:1], v[0:1], 3, v[10:11]
	global_store_dwordx2 v[0:1], v[8:9], off
	s_waitcnt lgkmcnt(0)
	v_mul_f32_e32 v8, v59, v7
	v_fmac_f32_e32 v8, v58, v6
	v_mul_f32_e32 v6, v59, v6
	v_fma_f32 v6, v58, v7, -v6
	v_cvt_f64_f32_e32 v[8:9], v8
	v_cvt_f64_f32_e32 v[6:7], v6
	v_mul_f64 v[8:9], v[8:9], s[0:1]
	v_mul_f64 v[6:7], v[6:7], s[0:1]
	v_cvt_f32_f64_e32 v8, v[8:9]
	v_cvt_f32_f64_e32 v9, v[6:7]
	v_mul_f32_e32 v6, v57, v3
	v_fmac_f32_e32 v6, v56, v2
	v_mul_f32_e32 v2, v57, v2
	v_mov_b32_e32 v10, 0x1080
	v_fma_f32 v2, v56, v3, -v2
	v_mad_u64_u32 v[0:1], s[2:3], s4, v10, v[0:1]
	s_mul_i32 s6, s5, 0x1080
	v_cvt_f64_f32_e32 v[6:7], v6
	v_cvt_f64_f32_e32 v[2:3], v2
	v_add_u32_e32 v1, s6, v1
	v_mul_f64 v[6:7], v[6:7], s[0:1]
	v_mul_f64 v[2:3], v[2:3], s[0:1]
	v_mov_b32_e32 v11, 0xfffff500
	global_store_dwordx2 v[0:1], v[8:9], off
	v_cvt_f32_f64_e32 v6, v[6:7]
	v_cvt_f32_f64_e32 v7, v[2:3]
	v_mad_u64_u32 v[8:9], s[2:3], s4, v11, v[0:1]
	ds_read2_b64 v[0:3], v29 offset0:64 offset1:240
	s_mul_i32 s2, s5, 0xfffff500
	s_sub_i32 s5, s2, s4
	v_add_u32_e32 v9, s5, v9
	global_store_dwordx2 v[8:9], v[6:7], off
	s_waitcnt lgkmcnt(0)
	v_mul_f32_e32 v6, v55, v1
	v_fmac_f32_e32 v6, v54, v0
	v_mul_f32_e32 v0, v55, v0
	v_fma_f32 v0, v54, v1, -v0
	v_cvt_f64_f32_e32 v[6:7], v6
	v_cvt_f64_f32_e32 v[0:1], v0
	v_mul_f64 v[6:7], v[6:7], s[0:1]
	v_mul_f64 v[0:1], v[0:1], s[0:1]
	v_cvt_f32_f64_e32 v6, v[6:7]
	v_cvt_f32_f64_e32 v7, v[0:1]
	v_mad_u64_u32 v[0:1], s[2:3], s4, v10, v[8:9]
	v_add_u32_e32 v1, s6, v1
	global_store_dwordx2 v[0:1], v[6:7], off
	v_mul_f32_e32 v6, v53, v5
	v_fmac_f32_e32 v6, v52, v4
	v_mul_f32_e32 v4, v53, v4
	v_fma_f32 v4, v52, v5, -v4
	v_cvt_f64_f32_e32 v[6:7], v6
	v_cvt_f64_f32_e32 v[4:5], v4
	v_mul_f64 v[6:7], v[6:7], s[0:1]
	v_mul_f64 v[4:5], v[4:5], s[0:1]
	v_cvt_f32_f64_e32 v6, v[6:7]
	v_cvt_f32_f64_e32 v7, v[4:5]
	v_mul_f32_e32 v4, v49, v3
	v_fmac_f32_e32 v4, v48, v2
	v_mul_f32_e32 v2, v49, v2
	v_mad_u64_u32 v[0:1], s[2:3], s4, v11, v[0:1]
	v_fma_f32 v2, v48, v3, -v2
	v_add_u32_e32 v1, s5, v1
	v_cvt_f64_f32_e32 v[4:5], v4
	v_cvt_f64_f32_e32 v[2:3], v2
	global_store_dwordx2 v[0:1], v[6:7], off
	v_mul_f64 v[4:5], v[4:5], s[0:1]
	v_mul_f64 v[2:3], v[2:3], s[0:1]
	v_mad_u64_u32 v[0:1], s[0:1], s4, v10, v[0:1]
	v_cvt_f32_f64_e32 v4, v[4:5]
	v_cvt_f32_f64_e32 v5, v[2:3]
	v_add_u32_e32 v1, s6, v1
	global_store_dwordx2 v[0:1], v[4:5], off
.LBB0_10:
	s_endpgm
	.section	.rodata,"a",@progbits
	.p2align	6, 0x0
	.amdhsa_kernel bluestein_single_back_len1056_dim1_sp_op_CI_CI
		.amdhsa_group_segment_fixed_size 8448
		.amdhsa_private_segment_fixed_size 0
		.amdhsa_kernarg_size 104
		.amdhsa_user_sgpr_count 2
		.amdhsa_user_sgpr_dispatch_ptr 0
		.amdhsa_user_sgpr_queue_ptr 0
		.amdhsa_user_sgpr_kernarg_segment_ptr 1
		.amdhsa_user_sgpr_dispatch_id 0
		.amdhsa_user_sgpr_kernarg_preload_length 0
		.amdhsa_user_sgpr_kernarg_preload_offset 0
		.amdhsa_user_sgpr_private_segment_size 0
		.amdhsa_uses_dynamic_stack 0
		.amdhsa_enable_private_segment 0
		.amdhsa_system_sgpr_workgroup_id_x 1
		.amdhsa_system_sgpr_workgroup_id_y 0
		.amdhsa_system_sgpr_workgroup_id_z 0
		.amdhsa_system_sgpr_workgroup_info 0
		.amdhsa_system_vgpr_workitem_id 0
		.amdhsa_next_free_vgpr 192
		.amdhsa_next_free_sgpr 38
		.amdhsa_accum_offset 192
		.amdhsa_reserve_vcc 1
		.amdhsa_float_round_mode_32 0
		.amdhsa_float_round_mode_16_64 0
		.amdhsa_float_denorm_mode_32 3
		.amdhsa_float_denorm_mode_16_64 3
		.amdhsa_dx10_clamp 1
		.amdhsa_ieee_mode 1
		.amdhsa_fp16_overflow 0
		.amdhsa_tg_split 0
		.amdhsa_exception_fp_ieee_invalid_op 0
		.amdhsa_exception_fp_denorm_src 0
		.amdhsa_exception_fp_ieee_div_zero 0
		.amdhsa_exception_fp_ieee_overflow 0
		.amdhsa_exception_fp_ieee_underflow 0
		.amdhsa_exception_fp_ieee_inexact 0
		.amdhsa_exception_int_div_zero 0
	.end_amdhsa_kernel
	.text
.Lfunc_end0:
	.size	bluestein_single_back_len1056_dim1_sp_op_CI_CI, .Lfunc_end0-bluestein_single_back_len1056_dim1_sp_op_CI_CI
                                        ; -- End function
	.section	.AMDGPU.csdata,"",@progbits
; Kernel info:
; codeLenInByte = 8448
; NumSgprs: 44
; NumVgprs: 192
; NumAgprs: 0
; TotalNumVgprs: 192
; ScratchSize: 0
; MemoryBound: 0
; FloatMode: 240
; IeeeMode: 1
; LDSByteSize: 8448 bytes/workgroup (compile time only)
; SGPRBlocks: 5
; VGPRBlocks: 23
; NumSGPRsForWavesPerEU: 44
; NumVGPRsForWavesPerEU: 192
; AccumOffset: 192
; Occupancy: 2
; WaveLimiterHint : 1
; COMPUTE_PGM_RSRC2:SCRATCH_EN: 0
; COMPUTE_PGM_RSRC2:USER_SGPR: 2
; COMPUTE_PGM_RSRC2:TRAP_HANDLER: 0
; COMPUTE_PGM_RSRC2:TGID_X_EN: 1
; COMPUTE_PGM_RSRC2:TGID_Y_EN: 0
; COMPUTE_PGM_RSRC2:TGID_Z_EN: 0
; COMPUTE_PGM_RSRC2:TIDIG_COMP_CNT: 0
; COMPUTE_PGM_RSRC3_GFX90A:ACCUM_OFFSET: 47
; COMPUTE_PGM_RSRC3_GFX90A:TG_SPLIT: 0
	.text
	.p2alignl 6, 3212836864
	.fill 256, 4, 3212836864
	.type	__hip_cuid_aecc8d25e41965d1,@object ; @__hip_cuid_aecc8d25e41965d1
	.section	.bss,"aw",@nobits
	.globl	__hip_cuid_aecc8d25e41965d1
__hip_cuid_aecc8d25e41965d1:
	.byte	0                               ; 0x0
	.size	__hip_cuid_aecc8d25e41965d1, 1

	.ident	"AMD clang version 19.0.0git (https://github.com/RadeonOpenCompute/llvm-project roc-6.4.0 25133 c7fe45cf4b819c5991fe208aaa96edf142730f1d)"
	.section	".note.GNU-stack","",@progbits
	.addrsig
	.addrsig_sym __hip_cuid_aecc8d25e41965d1
	.amdgpu_metadata
---
amdhsa.kernels:
  - .agpr_count:     0
    .args:
      - .actual_access:  read_only
        .address_space:  global
        .offset:         0
        .size:           8
        .value_kind:     global_buffer
      - .actual_access:  read_only
        .address_space:  global
        .offset:         8
        .size:           8
        .value_kind:     global_buffer
      - .actual_access:  read_only
        .address_space:  global
        .offset:         16
        .size:           8
        .value_kind:     global_buffer
      - .actual_access:  read_only
        .address_space:  global
        .offset:         24
        .size:           8
        .value_kind:     global_buffer
      - .actual_access:  read_only
        .address_space:  global
        .offset:         32
        .size:           8
        .value_kind:     global_buffer
      - .offset:         40
        .size:           8
        .value_kind:     by_value
      - .address_space:  global
        .offset:         48
        .size:           8
        .value_kind:     global_buffer
      - .address_space:  global
        .offset:         56
        .size:           8
        .value_kind:     global_buffer
      - .address_space:  global
        .offset:         64
        .size:           8
        .value_kind:     global_buffer
      - .address_space:  global
        .offset:         72
        .size:           8
        .value_kind:     global_buffer
      - .offset:         80
        .size:           4
        .value_kind:     by_value
      - .address_space:  global
        .offset:         88
        .size:           8
        .value_kind:     global_buffer
      - .address_space:  global
        .offset:         96
        .size:           8
        .value_kind:     global_buffer
    .group_segment_fixed_size: 8448
    .kernarg_segment_align: 8
    .kernarg_segment_size: 104
    .language:       OpenCL C
    .language_version:
      - 2
      - 0
    .max_flat_workgroup_size: 176
    .name:           bluestein_single_back_len1056_dim1_sp_op_CI_CI
    .private_segment_fixed_size: 0
    .sgpr_count:     44
    .sgpr_spill_count: 0
    .symbol:         bluestein_single_back_len1056_dim1_sp_op_CI_CI.kd
    .uniform_work_group_size: 1
    .uses_dynamic_stack: false
    .vgpr_count:     192
    .vgpr_spill_count: 0
    .wavefront_size: 64
amdhsa.target:   amdgcn-amd-amdhsa--gfx950
amdhsa.version:
  - 1
  - 2
...

	.end_amdgpu_metadata
